;; amdgpu-corpus repo=ROCm/rocSOLVER kind=compiled arch=gfx1100 opt=O3
	.text
	.amdgcn_target "amdgcn-amd-amdhsa--gfx1100"
	.amdhsa_code_object_version 6
	.section	.text._ZN9rocsolver6v33100L10reset_infoIiiiEEvPT_T0_T1_S4_,"axG",@progbits,_ZN9rocsolver6v33100L10reset_infoIiiiEEvPT_T0_T1_S4_,comdat
	.globl	_ZN9rocsolver6v33100L10reset_infoIiiiEEvPT_T0_T1_S4_ ; -- Begin function _ZN9rocsolver6v33100L10reset_infoIiiiEEvPT_T0_T1_S4_
	.p2align	8
	.type	_ZN9rocsolver6v33100L10reset_infoIiiiEEvPT_T0_T1_S4_,@function
_ZN9rocsolver6v33100L10reset_infoIiiiEEvPT_T0_T1_S4_: ; @_ZN9rocsolver6v33100L10reset_infoIiiiEEvPT_T0_T1_S4_
; %bb.0:
	s_clause 0x1
	s_load_b32 s2, s[0:1], 0x24
	s_load_b128 s[4:7], s[0:1], 0x8
	s_waitcnt lgkmcnt(0)
	s_and_b32 s2, s2, 0xffff
	s_delay_alu instid0(SALU_CYCLE_1) | instskip(SKIP_1) | instid1(VALU_DEP_1)
	v_mad_u64_u32 v[1:2], null, s15, s2, v[0:1]
	s_mov_b32 s2, exec_lo
	v_cmpx_gt_i32_e64 s4, v1
	s_cbranch_execz .LBB0_2
; %bb.1:
	s_load_b64 s[0:1], s[0:1], 0x0
	v_ashrrev_i32_e32 v2, 31, v1
	s_mov_b32 s2, s5
	s_delay_alu instid0(SALU_CYCLE_1) | instskip(NEXT) | instid1(VALU_DEP_2)
	v_mad_u64_u32 v[4:5], null, v1, s6, s[2:3]
	v_lshlrev_b64 v[2:3], 2, v[1:2]
	s_waitcnt lgkmcnt(0)
	s_delay_alu instid0(VALU_DEP_1) | instskip(NEXT) | instid1(VALU_DEP_2)
	v_add_co_u32 v0, vcc_lo, s0, v2
	v_add_co_ci_u32_e32 v1, vcc_lo, s1, v3, vcc_lo
	global_store_b32 v[0:1], v4, off
.LBB0_2:
	s_nop 0
	s_sendmsg sendmsg(MSG_DEALLOC_VGPRS)
	s_endpgm
	.section	.rodata,"a",@progbits
	.p2align	6, 0x0
	.amdhsa_kernel _ZN9rocsolver6v33100L10reset_infoIiiiEEvPT_T0_T1_S4_
		.amdhsa_group_segment_fixed_size 0
		.amdhsa_private_segment_fixed_size 0
		.amdhsa_kernarg_size 280
		.amdhsa_user_sgpr_count 15
		.amdhsa_user_sgpr_dispatch_ptr 0
		.amdhsa_user_sgpr_queue_ptr 0
		.amdhsa_user_sgpr_kernarg_segment_ptr 1
		.amdhsa_user_sgpr_dispatch_id 0
		.amdhsa_user_sgpr_private_segment_size 0
		.amdhsa_wavefront_size32 1
		.amdhsa_uses_dynamic_stack 0
		.amdhsa_enable_private_segment 0
		.amdhsa_system_sgpr_workgroup_id_x 1
		.amdhsa_system_sgpr_workgroup_id_y 0
		.amdhsa_system_sgpr_workgroup_id_z 0
		.amdhsa_system_sgpr_workgroup_info 0
		.amdhsa_system_vgpr_workitem_id 0
		.amdhsa_next_free_vgpr 6
		.amdhsa_next_free_sgpr 16
		.amdhsa_reserve_vcc 1
		.amdhsa_float_round_mode_32 0
		.amdhsa_float_round_mode_16_64 0
		.amdhsa_float_denorm_mode_32 3
		.amdhsa_float_denorm_mode_16_64 3
		.amdhsa_dx10_clamp 1
		.amdhsa_ieee_mode 1
		.amdhsa_fp16_overflow 0
		.amdhsa_workgroup_processor_mode 1
		.amdhsa_memory_ordered 1
		.amdhsa_forward_progress 0
		.amdhsa_shared_vgpr_count 0
		.amdhsa_exception_fp_ieee_invalid_op 0
		.amdhsa_exception_fp_denorm_src 0
		.amdhsa_exception_fp_ieee_div_zero 0
		.amdhsa_exception_fp_ieee_overflow 0
		.amdhsa_exception_fp_ieee_underflow 0
		.amdhsa_exception_fp_ieee_inexact 0
		.amdhsa_exception_int_div_zero 0
	.end_amdhsa_kernel
	.section	.text._ZN9rocsolver6v33100L10reset_infoIiiiEEvPT_T0_T1_S4_,"axG",@progbits,_ZN9rocsolver6v33100L10reset_infoIiiiEEvPT_T0_T1_S4_,comdat
.Lfunc_end0:
	.size	_ZN9rocsolver6v33100L10reset_infoIiiiEEvPT_T0_T1_S4_, .Lfunc_end0-_ZN9rocsolver6v33100L10reset_infoIiiiEEvPT_T0_T1_S4_
                                        ; -- End function
	.section	.AMDGPU.csdata,"",@progbits
; Kernel info:
; codeLenInByte = 136
; NumSgprs: 18
; NumVgprs: 6
; ScratchSize: 0
; MemoryBound: 0
; FloatMode: 240
; IeeeMode: 1
; LDSByteSize: 0 bytes/workgroup (compile time only)
; SGPRBlocks: 2
; VGPRBlocks: 0
; NumSGPRsForWavesPerEU: 18
; NumVGPRsForWavesPerEU: 6
; Occupancy: 16
; WaveLimiterHint : 0
; COMPUTE_PGM_RSRC2:SCRATCH_EN: 0
; COMPUTE_PGM_RSRC2:USER_SGPR: 15
; COMPUTE_PGM_RSRC2:TRAP_HANDLER: 0
; COMPUTE_PGM_RSRC2:TGID_X_EN: 1
; COMPUTE_PGM_RSRC2:TGID_Y_EN: 0
; COMPUTE_PGM_RSRC2:TGID_Z_EN: 0
; COMPUTE_PGM_RSRC2:TIDIG_COMP_CNT: 0
	.section	.text._ZN9rocsolver6v33100L16reset_batch_infoIfiiPfEEvT2_lT0_T1_,"axG",@progbits,_ZN9rocsolver6v33100L16reset_batch_infoIfiiPfEEvT2_lT0_T1_,comdat
	.globl	_ZN9rocsolver6v33100L16reset_batch_infoIfiiPfEEvT2_lT0_T1_ ; -- Begin function _ZN9rocsolver6v33100L16reset_batch_infoIfiiPfEEvT2_lT0_T1_
	.p2align	8
	.type	_ZN9rocsolver6v33100L16reset_batch_infoIfiiPfEEvT2_lT0_T1_,@function
_ZN9rocsolver6v33100L16reset_batch_infoIfiiPfEEvT2_lT0_T1_: ; @_ZN9rocsolver6v33100L16reset_batch_infoIfiiPfEEvT2_lT0_T1_
; %bb.0:
	s_clause 0x1
	s_load_b32 s4, s[0:1], 0x24
	s_load_b64 s[2:3], s[0:1], 0x10
	s_waitcnt lgkmcnt(0)
	s_and_b32 s4, s4, 0xffff
	s_delay_alu instid0(SALU_CYCLE_1) | instskip(NEXT) | instid1(VALU_DEP_1)
	v_mad_u64_u32 v[1:2], null, s14, s4, v[0:1]
	v_cmp_gt_i32_e32 vcc_lo, s2, v1
	s_and_saveexec_b32 s2, vcc_lo
	s_cbranch_execz .LBB1_2
; %bb.1:
	s_load_b128 s[4:7], s[0:1], 0x0
	v_ashrrev_i32_e32 v2, 31, v1
	s_ashr_i32 s0, s15, 31
	s_delay_alu instid0(VALU_DEP_1)
	v_lshlrev_b64 v[0:1], 2, v[1:2]
	v_cvt_f32_i32_e32 v2, s3
	s_waitcnt lgkmcnt(0)
	s_mul_i32 s1, s15, s7
	s_mul_hi_u32 s2, s15, s6
	s_mul_i32 s7, s0, s6
	s_add_i32 s1, s2, s1
	s_mul_i32 s0, s15, s6
	s_add_i32 s1, s1, s7
	s_delay_alu instid0(SALU_CYCLE_1) | instskip(NEXT) | instid1(SALU_CYCLE_1)
	s_lshl_b64 s[0:1], s[0:1], 2
	s_add_u32 s0, s4, s0
	s_addc_u32 s1, s5, s1
	v_add_co_u32 v0, vcc_lo, s0, v0
	v_add_co_ci_u32_e32 v1, vcc_lo, s1, v1, vcc_lo
	global_store_b32 v[0:1], v2, off
.LBB1_2:
	s_nop 0
	s_sendmsg sendmsg(MSG_DEALLOC_VGPRS)
	s_endpgm
	.section	.rodata,"a",@progbits
	.p2align	6, 0x0
	.amdhsa_kernel _ZN9rocsolver6v33100L16reset_batch_infoIfiiPfEEvT2_lT0_T1_
		.amdhsa_group_segment_fixed_size 0
		.amdhsa_private_segment_fixed_size 0
		.amdhsa_kernarg_size 280
		.amdhsa_user_sgpr_count 14
		.amdhsa_user_sgpr_dispatch_ptr 0
		.amdhsa_user_sgpr_queue_ptr 0
		.amdhsa_user_sgpr_kernarg_segment_ptr 1
		.amdhsa_user_sgpr_dispatch_id 0
		.amdhsa_user_sgpr_private_segment_size 0
		.amdhsa_wavefront_size32 1
		.amdhsa_uses_dynamic_stack 0
		.amdhsa_enable_private_segment 0
		.amdhsa_system_sgpr_workgroup_id_x 1
		.amdhsa_system_sgpr_workgroup_id_y 1
		.amdhsa_system_sgpr_workgroup_id_z 0
		.amdhsa_system_sgpr_workgroup_info 0
		.amdhsa_system_vgpr_workitem_id 0
		.amdhsa_next_free_vgpr 3
		.amdhsa_next_free_sgpr 16
		.amdhsa_reserve_vcc 1
		.amdhsa_float_round_mode_32 0
		.amdhsa_float_round_mode_16_64 0
		.amdhsa_float_denorm_mode_32 3
		.amdhsa_float_denorm_mode_16_64 3
		.amdhsa_dx10_clamp 1
		.amdhsa_ieee_mode 1
		.amdhsa_fp16_overflow 0
		.amdhsa_workgroup_processor_mode 1
		.amdhsa_memory_ordered 1
		.amdhsa_forward_progress 0
		.amdhsa_shared_vgpr_count 0
		.amdhsa_exception_fp_ieee_invalid_op 0
		.amdhsa_exception_fp_denorm_src 0
		.amdhsa_exception_fp_ieee_div_zero 0
		.amdhsa_exception_fp_ieee_overflow 0
		.amdhsa_exception_fp_ieee_underflow 0
		.amdhsa_exception_fp_ieee_inexact 0
		.amdhsa_exception_int_div_zero 0
	.end_amdhsa_kernel
	.section	.text._ZN9rocsolver6v33100L16reset_batch_infoIfiiPfEEvT2_lT0_T1_,"axG",@progbits,_ZN9rocsolver6v33100L16reset_batch_infoIfiiPfEEvT2_lT0_T1_,comdat
.Lfunc_end1:
	.size	_ZN9rocsolver6v33100L16reset_batch_infoIfiiPfEEvT2_lT0_T1_, .Lfunc_end1-_ZN9rocsolver6v33100L16reset_batch_infoIfiiPfEEvT2_lT0_T1_
                                        ; -- End function
	.section	.AMDGPU.csdata,"",@progbits
; Kernel info:
; codeLenInByte = 164
; NumSgprs: 18
; NumVgprs: 3
; ScratchSize: 0
; MemoryBound: 0
; FloatMode: 240
; IeeeMode: 1
; LDSByteSize: 0 bytes/workgroup (compile time only)
; SGPRBlocks: 2
; VGPRBlocks: 0
; NumSGPRsForWavesPerEU: 18
; NumVGPRsForWavesPerEU: 3
; Occupancy: 16
; WaveLimiterHint : 0
; COMPUTE_PGM_RSRC2:SCRATCH_EN: 0
; COMPUTE_PGM_RSRC2:USER_SGPR: 14
; COMPUTE_PGM_RSRC2:TRAP_HANDLER: 0
; COMPUTE_PGM_RSRC2:TGID_X_EN: 1
; COMPUTE_PGM_RSRC2:TGID_Y_EN: 1
; COMPUTE_PGM_RSRC2:TGID_Z_EN: 0
; COMPUTE_PGM_RSRC2:TIDIG_COMP_CNT: 0
	.section	.text._ZN9rocsolver6v33100L19stedcx_case1_kernelIfEEv15rocblas_erange_T_S3_PS3_lPiS4_l,"axG",@progbits,_ZN9rocsolver6v33100L19stedcx_case1_kernelIfEEv15rocblas_erange_T_S3_PS3_lPiS4_l,comdat
	.globl	_ZN9rocsolver6v33100L19stedcx_case1_kernelIfEEv15rocblas_erange_T_S3_PS3_lPiS4_l ; -- Begin function _ZN9rocsolver6v33100L19stedcx_case1_kernelIfEEv15rocblas_erange_T_S3_PS3_lPiS4_l
	.p2align	8
	.type	_ZN9rocsolver6v33100L19stedcx_case1_kernelIfEEv15rocblas_erange_T_S3_PS3_lPiS4_l,@function
_ZN9rocsolver6v33100L19stedcx_case1_kernelIfEEv15rocblas_erange_T_S3_PS3_lPiS4_l: ; @_ZN9rocsolver6v33100L19stedcx_case1_kernelIfEEv15rocblas_erange_T_S3_PS3_lPiS4_l
; %bb.0:
	s_load_b256 s[4:11], s[0:1], 0x10
	s_ashr_i32 s3, s15, 31
	s_mov_b32 s2, s15
	s_waitcnt lgkmcnt(0)
	s_mul_i32 s7, s15, s7
	s_mul_hi_u32 s12, s15, s6
	s_mul_i32 s16, s3, s6
	s_add_i32 s7, s12, s7
	s_mul_i32 s6, s2, s6
	s_add_i32 s7, s7, s16
	s_load_b128 s[12:15], s[0:1], 0x0
	s_lshl_b64 s[6:7], s[6:7], 2
	s_delay_alu instid0(SALU_CYCLE_1)
	s_add_u32 s4, s4, s6
	s_addc_u32 s5, s5, s7
	s_load_b32 s4, s[4:5], 0x0
	s_waitcnt lgkmcnt(0)
	s_cmpk_lg_i32 s12, 0xe8
	s_cselect_b32 s6, -1, 0
	s_delay_alu instid0(SALU_CYCLE_1)
	s_and_b32 vcc_lo, exec_lo, s6
	s_cbranch_vccnz .LBB2_2
; %bb.1:
	v_cmp_nle_f32_e64 s5, s4, s13
	v_cmp_ngt_f32_e64 s6, s4, s14
	s_delay_alu instid0(VALU_DEP_1)
	s_and_b32 s6, s5, s6
	s_mov_b32 s5, -1
	s_and_not1_b32 vcc_lo, exec_lo, s6
	s_cbranch_vccz .LBB2_3
	s_branch .LBB2_4
.LBB2_2:
	s_mov_b32 s5, 0
	s_and_not1_b32 vcc_lo, exec_lo, s6
	s_cbranch_vccnz .LBB2_4
.LBB2_3:
	s_load_b64 s[0:1], s[0:1], 0x30
	v_dual_mov_b32 v0, 0 :: v_dual_mov_b32 v1, 1
	v_mov_b32_e32 v2, s4
	s_waitcnt lgkmcnt(0)
	s_mul_i32 s1, s2, s1
	s_mul_hi_u32 s5, s2, s0
	s_mul_i32 s6, s3, s0
	s_add_i32 s1, s5, s1
	s_mul_i32 s0, s2, s0
	s_add_i32 s1, s1, s6
	s_mov_b32 s5, 0
	s_lshl_b64 s[0:1], s[0:1], 2
	s_delay_alu instid0(SALU_CYCLE_1) | instskip(SKIP_2) | instid1(SALU_CYCLE_1)
	s_add_u32 s0, s10, s0
	s_addc_u32 s1, s11, s1
	s_lshl_b64 s[6:7], s[2:3], 2
	s_add_u32 s6, s8, s6
	s_addc_u32 s7, s9, s7
	s_clause 0x1
	global_store_b32 v0, v1, s[6:7]
	global_store_b32 v0, v2, s[0:1]
.LBB2_4:
	s_and_not1_b32 vcc_lo, exec_lo, s5
	s_cbranch_vccnz .LBB2_6
; %bb.5:
	s_lshl_b64 s[0:1], s[2:3], 2
	v_mov_b32_e32 v0, 0
	s_add_u32 s0, s8, s0
	s_addc_u32 s1, s9, s1
	global_store_b32 v0, v0, s[0:1]
.LBB2_6:
	s_nop 0
	s_sendmsg sendmsg(MSG_DEALLOC_VGPRS)
	s_endpgm
	.section	.rodata,"a",@progbits
	.p2align	6, 0x0
	.amdhsa_kernel _ZN9rocsolver6v33100L19stedcx_case1_kernelIfEEv15rocblas_erange_T_S3_PS3_lPiS4_l
		.amdhsa_group_segment_fixed_size 0
		.amdhsa_private_segment_fixed_size 0
		.amdhsa_kernarg_size 56
		.amdhsa_user_sgpr_count 15
		.amdhsa_user_sgpr_dispatch_ptr 0
		.amdhsa_user_sgpr_queue_ptr 0
		.amdhsa_user_sgpr_kernarg_segment_ptr 1
		.amdhsa_user_sgpr_dispatch_id 0
		.amdhsa_user_sgpr_private_segment_size 0
		.amdhsa_wavefront_size32 1
		.amdhsa_uses_dynamic_stack 0
		.amdhsa_enable_private_segment 0
		.amdhsa_system_sgpr_workgroup_id_x 1
		.amdhsa_system_sgpr_workgroup_id_y 0
		.amdhsa_system_sgpr_workgroup_id_z 0
		.amdhsa_system_sgpr_workgroup_info 0
		.amdhsa_system_vgpr_workitem_id 0
		.amdhsa_next_free_vgpr 3
		.amdhsa_next_free_sgpr 17
		.amdhsa_reserve_vcc 1
		.amdhsa_float_round_mode_32 0
		.amdhsa_float_round_mode_16_64 0
		.amdhsa_float_denorm_mode_32 3
		.amdhsa_float_denorm_mode_16_64 3
		.amdhsa_dx10_clamp 1
		.amdhsa_ieee_mode 1
		.amdhsa_fp16_overflow 0
		.amdhsa_workgroup_processor_mode 1
		.amdhsa_memory_ordered 1
		.amdhsa_forward_progress 0
		.amdhsa_shared_vgpr_count 0
		.amdhsa_exception_fp_ieee_invalid_op 0
		.amdhsa_exception_fp_denorm_src 0
		.amdhsa_exception_fp_ieee_div_zero 0
		.amdhsa_exception_fp_ieee_overflow 0
		.amdhsa_exception_fp_ieee_underflow 0
		.amdhsa_exception_fp_ieee_inexact 0
		.amdhsa_exception_int_div_zero 0
	.end_amdhsa_kernel
	.section	.text._ZN9rocsolver6v33100L19stedcx_case1_kernelIfEEv15rocblas_erange_T_S3_PS3_lPiS4_l,"axG",@progbits,_ZN9rocsolver6v33100L19stedcx_case1_kernelIfEEv15rocblas_erange_T_S3_PS3_lPiS4_l,comdat
.Lfunc_end2:
	.size	_ZN9rocsolver6v33100L19stedcx_case1_kernelIfEEv15rocblas_erange_T_S3_PS3_lPiS4_l, .Lfunc_end2-_ZN9rocsolver6v33100L19stedcx_case1_kernelIfEEv15rocblas_erange_T_S3_PS3_lPiS4_l
                                        ; -- End function
	.section	.AMDGPU.csdata,"",@progbits
; Kernel info:
; codeLenInByte = 296
; NumSgprs: 19
; NumVgprs: 3
; ScratchSize: 0
; MemoryBound: 0
; FloatMode: 240
; IeeeMode: 1
; LDSByteSize: 0 bytes/workgroup (compile time only)
; SGPRBlocks: 2
; VGPRBlocks: 0
; NumSGPRsForWavesPerEU: 19
; NumVGPRsForWavesPerEU: 3
; Occupancy: 16
; WaveLimiterHint : 0
; COMPUTE_PGM_RSRC2:SCRATCH_EN: 0
; COMPUTE_PGM_RSRC2:USER_SGPR: 15
; COMPUTE_PGM_RSRC2:TRAP_HANDLER: 0
; COMPUTE_PGM_RSRC2:TGID_X_EN: 1
; COMPUTE_PGM_RSRC2:TGID_Y_EN: 0
; COMPUTE_PGM_RSRC2:TGID_Z_EN: 0
; COMPUTE_PGM_RSRC2:TIDIG_COMP_CNT: 0
	.section	.text._ZN9rocsolver6v33100L10init_identIfPfEEviiT0_iil,"axG",@progbits,_ZN9rocsolver6v33100L10init_identIfPfEEviiT0_iil,comdat
	.globl	_ZN9rocsolver6v33100L10init_identIfPfEEviiT0_iil ; -- Begin function _ZN9rocsolver6v33100L10init_identIfPfEEviiT0_iil
	.p2align	8
	.type	_ZN9rocsolver6v33100L10init_identIfPfEEviiT0_iil,@function
_ZN9rocsolver6v33100L10init_identIfPfEEviiT0_iil: ; @_ZN9rocsolver6v33100L10init_identIfPfEEviiT0_iil
; %bb.0:
	s_clause 0x1
	s_load_b32 s4, s[0:1], 0x2c
	s_load_b64 s[2:3], s[0:1], 0x0
	v_and_b32_e32 v1, 0x3ff, v0
	v_bfe_u32 v0, v0, 10, 10
	s_waitcnt lgkmcnt(0)
	s_lshr_b32 s5, s4, 16
	s_and_b32 s4, s4, 0xffff
	s_delay_alu instid0(SALU_CYCLE_1) | instskip(SKIP_1) | instid1(VALU_DEP_2)
	v_mad_u64_u32 v[2:3], null, s13, s4, v[1:2]
	v_mad_u64_u32 v[3:4], null, s14, s5, v[0:1]
	v_cmp_gt_u32_e32 vcc_lo, s2, v2
	s_delay_alu instid0(VALU_DEP_2) | instskip(NEXT) | instid1(VALU_DEP_1)
	v_cmp_gt_u32_e64 s2, s3, v3
	s_and_b32 s2, vcc_lo, s2
	s_delay_alu instid0(SALU_CYCLE_1)
	s_and_saveexec_b32 s3, s2
	s_cbranch_execz .LBB3_6
; %bb.1:
	s_load_b64 s[2:3], s[0:1], 0x10
	s_mov_b32 s4, exec_lo
                                        ; implicit-def: $sgpr5
                                        ; implicit-def: $vgpr0
	v_cmpx_ne_u32_e64 v2, v3
	s_xor_b32 s4, exec_lo, s4
	s_cbranch_execz .LBB3_3
; %bb.2:
	s_waitcnt lgkmcnt(0)
	v_mad_u64_u32 v[0:1], null, v3, s3, v[2:3]
	s_mov_b32 s5, 0
                                        ; implicit-def: $vgpr2_vgpr3
.LBB3_3:
	s_or_saveexec_b32 s4, s4
	v_mov_b32_e32 v3, s5
	s_xor_b32 exec_lo, exec_lo, s4
	s_cbranch_execz .LBB3_5
; %bb.4:
	s_waitcnt lgkmcnt(0)
	s_delay_alu instid0(VALU_DEP_1)
	v_mad_u64_u32 v[0:1], null, v2, s3, v[2:3]
	v_mov_b32_e32 v3, 1.0
.LBB3_5:
	s_or_b32 exec_lo, exec_lo, s4
	s_clause 0x1
	s_load_b64 s[4:5], s[0:1], 0x18
	s_load_b64 s[0:1], s[0:1], 0x8
	v_mov_b32_e32 v1, 0
	s_delay_alu instid0(VALU_DEP_1)
	v_lshlrev_b64 v[0:1], 2, v[0:1]
	s_waitcnt lgkmcnt(0)
	s_mul_i32 s3, s15, s5
	s_mul_hi_u32 s5, s15, s4
	s_mul_i32 s4, s15, s4
	s_add_i32 s5, s5, s3
	s_ashr_i32 s3, s2, 31
	s_lshl_b64 s[4:5], s[4:5], 2
	s_delay_alu instid0(SALU_CYCLE_1) | instskip(SKIP_2) | instid1(SALU_CYCLE_1)
	s_add_u32 s4, s0, s4
	s_addc_u32 s5, s1, s5
	s_lshl_b64 s[0:1], s[2:3], 2
	s_add_u32 s0, s4, s0
	s_addc_u32 s1, s5, s1
	v_add_co_u32 v0, vcc_lo, s0, v0
	v_add_co_ci_u32_e32 v1, vcc_lo, s1, v1, vcc_lo
	global_store_b32 v[0:1], v3, off
.LBB3_6:
	s_nop 0
	s_sendmsg sendmsg(MSG_DEALLOC_VGPRS)
	s_endpgm
	.section	.rodata,"a",@progbits
	.p2align	6, 0x0
	.amdhsa_kernel _ZN9rocsolver6v33100L10init_identIfPfEEviiT0_iil
		.amdhsa_group_segment_fixed_size 0
		.amdhsa_private_segment_fixed_size 0
		.amdhsa_kernarg_size 288
		.amdhsa_user_sgpr_count 13
		.amdhsa_user_sgpr_dispatch_ptr 0
		.amdhsa_user_sgpr_queue_ptr 0
		.amdhsa_user_sgpr_kernarg_segment_ptr 1
		.amdhsa_user_sgpr_dispatch_id 0
		.amdhsa_user_sgpr_private_segment_size 0
		.amdhsa_wavefront_size32 1
		.amdhsa_uses_dynamic_stack 0
		.amdhsa_enable_private_segment 0
		.amdhsa_system_sgpr_workgroup_id_x 1
		.amdhsa_system_sgpr_workgroup_id_y 1
		.amdhsa_system_sgpr_workgroup_id_z 1
		.amdhsa_system_sgpr_workgroup_info 0
		.amdhsa_system_vgpr_workitem_id 1
		.amdhsa_next_free_vgpr 5
		.amdhsa_next_free_sgpr 16
		.amdhsa_reserve_vcc 1
		.amdhsa_float_round_mode_32 0
		.amdhsa_float_round_mode_16_64 0
		.amdhsa_float_denorm_mode_32 3
		.amdhsa_float_denorm_mode_16_64 3
		.amdhsa_dx10_clamp 1
		.amdhsa_ieee_mode 1
		.amdhsa_fp16_overflow 0
		.amdhsa_workgroup_processor_mode 1
		.amdhsa_memory_ordered 1
		.amdhsa_forward_progress 0
		.amdhsa_shared_vgpr_count 0
		.amdhsa_exception_fp_ieee_invalid_op 0
		.amdhsa_exception_fp_denorm_src 0
		.amdhsa_exception_fp_ieee_div_zero 0
		.amdhsa_exception_fp_ieee_overflow 0
		.amdhsa_exception_fp_ieee_underflow 0
		.amdhsa_exception_fp_ieee_inexact 0
		.amdhsa_exception_int_div_zero 0
	.end_amdhsa_kernel
	.section	.text._ZN9rocsolver6v33100L10init_identIfPfEEviiT0_iil,"axG",@progbits,_ZN9rocsolver6v33100L10init_identIfPfEEviiT0_iil,comdat
.Lfunc_end3:
	.size	_ZN9rocsolver6v33100L10init_identIfPfEEviiT0_iil, .Lfunc_end3-_ZN9rocsolver6v33100L10init_identIfPfEEviiT0_iil
                                        ; -- End function
	.section	.AMDGPU.csdata,"",@progbits
; Kernel info:
; codeLenInByte = 308
; NumSgprs: 18
; NumVgprs: 5
; ScratchSize: 0
; MemoryBound: 0
; FloatMode: 240
; IeeeMode: 1
; LDSByteSize: 0 bytes/workgroup (compile time only)
; SGPRBlocks: 2
; VGPRBlocks: 0
; NumSGPRsForWavesPerEU: 18
; NumVGPRsForWavesPerEU: 5
; Occupancy: 16
; WaveLimiterHint : 0
; COMPUTE_PGM_RSRC2:SCRATCH_EN: 0
; COMPUTE_PGM_RSRC2:USER_SGPR: 13
; COMPUTE_PGM_RSRC2:TRAP_HANDLER: 0
; COMPUTE_PGM_RSRC2:TGID_X_EN: 1
; COMPUTE_PGM_RSRC2:TGID_Y_EN: 1
; COMPUTE_PGM_RSRC2:TGID_Z_EN: 1
; COMPUTE_PGM_RSRC2:TIDIG_COMP_CNT: 1
	.section	.text._ZN9rocsolver6v33100L19stedcx_split_kernelIfEEv15rocblas_erange_iT_S3_iiPS3_lS4_lS4_lPiS4_S3_S3_,"axG",@progbits,_ZN9rocsolver6v33100L19stedcx_split_kernelIfEEv15rocblas_erange_iT_S3_iiPS3_lS4_lS4_lPiS4_S3_S3_,comdat
	.globl	_ZN9rocsolver6v33100L19stedcx_split_kernelIfEEv15rocblas_erange_iT_S3_iiPS3_lS4_lS4_lPiS4_S3_S3_ ; -- Begin function _ZN9rocsolver6v33100L19stedcx_split_kernelIfEEv15rocblas_erange_iT_S3_iiPS3_lS4_lS4_lPiS4_S3_S3_
	.p2align	8
	.type	_ZN9rocsolver6v33100L19stedcx_split_kernelIfEEv15rocblas_erange_iT_S3_iiPS3_lS4_lS4_lPiS4_S3_S3_,@function
_ZN9rocsolver6v33100L19stedcx_split_kernelIfEEv15rocblas_erange_iT_S3_iiPS3_lS4_lS4_lPiS4_S3_S3_: ; @_ZN9rocsolver6v33100L19stedcx_split_kernelIfEEv15rocblas_erange_iT_S3_iiPS3_lS4_lS4_lPiS4_S3_S3_
; %bb.0:
	s_clause 0x2
	s_load_b512 s[16:31], s[0:1], 0x18
	s_load_b128 s[4:7], s[0:1], 0x0
	s_load_b64 s[8:9], s[0:1], 0x10
	s_ashr_i32 s47, s15, 31
	v_lshlrev_b32_e32 v12, 2, v0
	s_waitcnt lgkmcnt(0)
	s_mul_i32 s2, s15, s19
	s_mul_hi_u32 s3, s15, s18
	s_mul_i32 s10, s47, s18
	s_add_i32 s2, s3, s2
	s_ashr_i32 s11, s5, 31
	s_lshl_b32 s14, s5, 2
	s_add_i32 s41, s2, s10
	v_cmp_gt_i32_e32 vcc_lo, s5, v0
	s_cmpk_eq_i32 s4, 0xe9
	s_mul_i32 s40, s15, s18
	s_cselect_b32 s46, -1, 0
	s_mov_b32 s10, s5
	s_and_b32 s2, s46, vcc_lo
	s_delay_alu instid0(SALU_CYCLE_1)
	s_and_saveexec_b32 s3, s2
	s_cbranch_execz .LBB4_3
; %bb.1:
	s_load_b32 s2, s[0:1], 0x6c
	s_add_i32 s12, s14, 2
	s_lshl_b64 s[34:35], s[10:11], 2
	s_mul_i32 s12, s15, s12
	v_mov_b32_e32 v5, v0
	s_ashr_i32 s13, s12, 31
	s_delay_alu instid0(SALU_CYCLE_1)
	s_lshl_b64 s[12:13], s[12:13], 2
	s_waitcnt lgkmcnt(0)
	s_and_b32 s18, s2, 0xffff
	s_add_u32 s2, s34, s12
	s_addc_u32 s12, s35, s13
	s_add_u32 s2, s30, s2
	s_addc_u32 s33, s31, s12
	v_add_co_u32 v3, s2, s2, v12
	s_lshl_b64 s[12:13], s[40:41], 2
	s_lshl_b32 s19, s18, 2
	v_add_co_ci_u32_e64 v4, null, s33, 0, s2
	s_add_u32 s2, s16, s12
	s_addc_u32 s12, s17, s13
	v_add_co_u32 v1, s2, s2, v12
	v_add_co_u32 v3, vcc_lo, v3, 8
	v_add_co_ci_u32_e64 v2, null, s12, 0, s2
	v_add_co_ci_u32_e32 v4, vcc_lo, 0, v4, vcc_lo
	s_mov_b32 s33, 0
	s_mov_b64 s[12:13], 0
	.p2align	6
.LBB4_2:                                ; =>This Inner Loop Header: Depth=1
	s_delay_alu instid0(SALU_CYCLE_1)
	v_add_co_u32 v6, vcc_lo, v1, s12
	v_add_co_ci_u32_e32 v7, vcc_lo, s13, v2, vcc_lo
	v_add_nc_u32_e32 v5, s18, v5
	global_load_b32 v8, v[6:7], off
	v_add_co_u32 v6, vcc_lo, v3, s12
	v_cmp_le_i32_e64 s2, s5, v5
	v_add_co_ci_u32_e32 v7, vcc_lo, s13, v4, vcc_lo
	s_add_u32 s12, s12, s19
	s_addc_u32 s13, s13, 0
	s_delay_alu instid0(VALU_DEP_2)
	s_or_b32 s33, s2, s33
	s_waitcnt vmcnt(0)
	global_store_b32 v[6:7], v8, off
	s_and_not1_b32 exec_lo, exec_lo, s33
	s_cbranch_execnz .LBB4_2
.LBB4_3:
	s_or_b32 exec_lo, exec_lo, s3
	s_add_i32 s33, s5, -1
	v_mov_b32_e32 v1, 0
	s_ashr_i32 s2, s33, 31
	s_delay_alu instid0(SALU_CYCLE_1) | instskip(NEXT) | instid1(SALU_CYCLE_1)
	s_lshr_b32 s2, s2, 24
	s_add_i32 s2, s33, s2
	s_delay_alu instid0(SALU_CYCLE_1) | instskip(SKIP_2) | instid1(SALU_CYCLE_1)
	s_and_b32 s3, s2, 0xffffff00
	s_ashr_i32 s2, s2, 8
	s_sub_i32 s3, s33, s3
	v_cmp_gt_i32_e32 vcc_lo, s3, v0
	v_add_co_ci_u32_e64 v13, null, s2, 0, vcc_lo
	v_cmp_eq_u32_e64 s2, 0, v0
	v_cmp_ne_u32_e32 vcc_lo, 0, v0
	ds_store_b32 v12, v13
	s_waitcnt lgkmcnt(0)
	s_waitcnt_vscnt null, 0x0
	s_barrier
	buffer_gl0_inv
	s_and_saveexec_b32 s12, vcc_lo
	s_cbranch_execz .LBB4_13
; %bb.4:
	v_dual_mov_b32 v1, 0 :: v_dual_mov_b32 v2, 0
	s_mov_b32 s18, 0
	s_mov_b32 s13, exec_lo
	v_cmpx_lt_u32_e32 7, v0
	s_cbranch_execz .LBB4_8
; %bb.5:
	v_dual_mov_b32 v1, 0 :: v_dual_and_b32 v2, 0xf8, v0
	s_mov_b32 s19, 0
	s_mov_b32 s34, 0
	.p2align	6
.LBB4_6:                                ; =>This Inner Loop Header: Depth=1
	v_mov_b32_e32 v7, s18
	s_add_i32 s34, s34, 8
	s_add_i32 s18, s18, 32
	v_cmp_eq_u32_e64 s3, s34, v2
	ds_load_b128 v[3:6], v7
	ds_load_b128 v[7:10], v7 offset:16
	s_or_b32 s19, s3, s19
	s_waitcnt lgkmcnt(1)
	v_add_nc_u32_e32 v1, v3, v1
	s_delay_alu instid0(VALU_DEP_1) | instskip(NEXT) | instid1(VALU_DEP_1)
	v_add_nc_u32_e32 v1, v4, v1
	v_add_nc_u32_e32 v1, v5, v1
	s_delay_alu instid0(VALU_DEP_1) | instskip(SKIP_1) | instid1(VALU_DEP_1)
	v_add_nc_u32_e32 v1, v6, v1
	s_waitcnt lgkmcnt(0)
	v_add_nc_u32_e32 v1, v7, v1
	s_delay_alu instid0(VALU_DEP_1) | instskip(NEXT) | instid1(VALU_DEP_1)
	v_add_nc_u32_e32 v1, v8, v1
	v_add_nc_u32_e32 v1, v9, v1
	s_delay_alu instid0(VALU_DEP_1)
	v_add_nc_u32_e32 v1, v10, v1
	s_and_not1_b32 exec_lo, exec_lo, s19
	s_cbranch_execnz .LBB4_6
; %bb.7:
	s_or_b32 exec_lo, exec_lo, s19
.LBB4_8:
	s_delay_alu instid0(SALU_CYCLE_1) | instskip(SKIP_3) | instid1(VALU_DEP_1)
	s_or_b32 exec_lo, exec_lo, s13
	v_and_b32_e32 v3, 7, v0
	s_mov_b32 s18, 0
	s_mov_b32 s13, exec_lo
	v_cmpx_ne_u32_e32 0, v3
	s_cbranch_execz .LBB4_12
; %bb.9:
	v_lshlrev_b32_e32 v2, 2, v2
.LBB4_10:                               ; =>This Inner Loop Header: Depth=1
	ds_load_b32 v4, v2
	v_add_nc_u32_e32 v3, -1, v3
	v_add_nc_u32_e32 v2, 4, v2
	s_delay_alu instid0(VALU_DEP_2) | instskip(NEXT) | instid1(VALU_DEP_1)
	v_cmp_eq_u32_e64 s3, 0, v3
	s_or_b32 s18, s3, s18
	s_waitcnt lgkmcnt(0)
	v_add_nc_u32_e32 v1, v4, v1
	s_and_not1_b32 exec_lo, exec_lo, s18
	s_cbranch_execnz .LBB4_10
; %bb.11:
	s_or_b32 exec_lo, exec_lo, s18
.LBB4_12:
	s_delay_alu instid0(SALU_CYCLE_1)
	s_or_b32 exec_lo, exec_lo, s13
.LBB4_13:
	s_delay_alu instid0(SALU_CYCLE_1)
	s_or_b32 exec_lo, exec_lo, s12
	s_mul_i32 s3, s5, 5
	s_mul_i32 s18, s15, s27
	s_add_i32 s3, s3, 2
	s_mul_hi_u32 s19, s15, s26
	s_mul_i32 s12, s3, s15
	s_mul_i32 s3, s47, s26
	s_ashr_i32 s13, s12, 31
	s_add_i32 s18, s19, s18
	s_lshl_b64 s[12:13], s[12:13], 2
	s_add_i32 s27, s18, s3
	s_load_b64 s[36:37], s[0:1], 0x58
	s_add_u32 s44, s28, s12
	s_addc_u32 s45, s29, s13
	s_lshl_b64 s[18:19], s[10:11], 2
	v_ashrrev_i32_e32 v2, 31, v1
	s_add_u32 s42, s44, s18
	s_addc_u32 s43, s45, s19
	s_lshl_b32 s34, s5, 1
	s_mul_i32 s26, s15, s26
	s_ashr_i32 s35, s34, 31
	v_lshlrev_b64 v[10:11], 2, v[1:2]
	s_lshl_b64 s[38:39], s[34:35], 2
	v_mov_b32_e32 v2, 0
	s_add_u32 s0, s42, s38
	s_addc_u32 s1, s43, s39
	s_mov_b32 s35, 0
	v_add_co_u32 v14, s0, s0, v10
	s_delay_alu instid0(VALU_DEP_1)
	v_add_co_ci_u32_e64 v15, s0, s1, v11, s0
	s_mov_b32 s3, exec_lo
	v_cmpx_lt_i32_e32 0, v13
	s_cbranch_execz .LBB4_19
; %bb.14:
	s_add_i32 s0, s14, 2
	s_mul_i32 s47, s22, s47
	s_mul_i32 s0, s15, s0
	s_mul_hi_u32 s48, s22, s15
	s_ashr_i32 s1, s0, 31
	s_mul_i32 s23, s23, s15
	s_lshl_b64 s[0:1], s[0:1], 2
	s_mul_i32 s22, s22, s15
	s_add_u32 s49, s30, s0
	v_add_co_u32 v16, s0, v14, 8
	s_delay_alu instid0(VALU_DEP_1)
	v_add_co_ci_u32_e64 v17, s0, 0, v15, s0
	s_addc_u32 s1, s31, s1
	v_add_co_u32 v2, s0, s49, v10
	s_add_i32 s47, s48, s47
	v_add_co_ci_u32_e64 v3, s0, s1, v11, s0
	s_add_i32 s23, s47, s23
	s_delay_alu instid0(VALU_DEP_2) | instskip(SKIP_1) | instid1(VALU_DEP_2)
	v_add_co_u32 v4, s0, v2, 12
	s_lshl_b64 s[22:23], s[22:23], 2
	v_add_co_ci_u32_e64 v5, s0, 0, v3, s0
	s_add_u32 s0, s20, s22
	s_addc_u32 s1, s21, s23
	v_add_co_u32 v6, s0, s0, v10
	s_lshl_b64 s[20:21], s[40:41], 2
	v_add_co_ci_u32_e64 v7, s0, s1, v11, s0
	s_add_u32 s0, s16, s20
	s_addc_u32 s1, s17, s21
	;; [unrolled: 5-line block ×3, first 2 shown]
	v_add_co_u32 v10, s0, s0, v10
	s_delay_alu instid0(VALU_DEP_1)
	v_add_co_ci_u32_e64 v11, s0, s1, v11, s0
	v_mov_b32_e32 v2, 0
	s_branch .LBB4_16
.LBB4_15:                               ;   in Loop: Header=BB4_16 Depth=1
	s_or_b32 exec_lo, exec_lo, s1
	global_store_b32 v[4:5], v3, off
	global_store_b32 v[10:11], v18, off
	v_add_co_u32 v4, s0, v4, 4
	s_delay_alu instid0(VALU_DEP_1) | instskip(SKIP_4) | instid1(VALU_DEP_1)
	v_add_co_ci_u32_e64 v5, s0, 0, v5, s0
	v_add_co_u32 v6, s0, v6, 4
	v_add_nc_u32_e32 v13, -1, v13
	v_add_co_ci_u32_e64 v7, s0, 0, v7, s0
	v_add_co_u32 v8, s0, v8, 4
	v_add_co_ci_u32_e64 v9, s0, 0, v9, s0
	s_delay_alu instid0(VALU_DEP_4) | instskip(SKIP_3) | instid1(VALU_DEP_4)
	v_cmp_eq_u32_e64 s0, 0, v13
	v_add_co_u32 v10, s1, v10, 4
	v_add_nc_u32_e32 v1, 1, v1
	v_add_co_ci_u32_e64 v11, s1, 0, v11, s1
	s_or_b32 s35, s0, s35
	s_delay_alu instid0(SALU_CYCLE_1)
	s_and_not1_b32 exec_lo, exec_lo, s35
	s_cbranch_execz .LBB4_18
.LBB4_16:                               ; =>This Inner Loop Header: Depth=1
	global_load_b64 v[19:20], v[8:9], off
	global_load_b32 v18, v[6:7], off
	s_mov_b32 s1, exec_lo
	s_waitcnt vmcnt(1)
	v_mul_f32_e32 v3, v19, v20
	s_waitcnt lgkmcnt(0)
	s_delay_alu instid0(VALU_DEP_1) | instskip(SKIP_2) | instid1(VALU_DEP_2)
	v_mul_f32_e64 v19, |v3|, s36
	s_waitcnt vmcnt(0)
	v_mul_f32_e32 v3, v18, v18
	v_fma_f32 v19, v19, s36, s37
	s_delay_alu instid0(VALU_DEP_1)
	v_cmpx_gt_f32_e32 v19, v3
	s_cbranch_execz .LBB4_15
; %bb.17:                               ;   in Loop: Header=BB4_16 Depth=1
	v_ashrrev_i32_e32 v3, 31, v2
	s_delay_alu instid0(VALU_DEP_1) | instskip(SKIP_1) | instid1(VALU_DEP_2)
	v_lshlrev_b64 v[18:19], 2, v[2:3]
	v_dual_mov_b32 v3, 0 :: v_dual_add_nc_u32 v2, 1, v2
	v_add_co_u32 v20, s0, v16, v18
	s_delay_alu instid0(VALU_DEP_1)
	v_add_co_ci_u32_e64 v21, s0, v17, v19, s0
	v_mov_b32_e32 v18, 0
	global_store_b32 v[20:21], v1, off
	s_branch .LBB4_15
.LBB4_18:
	s_or_b32 exec_lo, exec_lo, s35
.LBB4_19:
	s_delay_alu instid0(SALU_CYCLE_1)
	s_or_b32 exec_lo, exec_lo, s3
	v_mov_b32_e32 v3, 1
	ds_store_b32 v12, v2
	s_waitcnt lgkmcnt(0)
	s_waitcnt_vscnt null, 0x0
	s_barrier
	buffer_gl0_inv
	s_and_saveexec_b32 s0, vcc_lo
	s_cbranch_execz .LBB4_29
; %bb.20:
	v_mov_b32_e32 v3, 1
	v_mov_b32_e32 v1, 0
	s_mov_b32 s1, exec_lo
	v_cmpx_lt_u32_e32 7, v0
	s_cbranch_execz .LBB4_24
; %bb.21:
	v_and_b32_e32 v1, 0xf8, v0
	v_mov_b32_e32 v3, 1
	s_mov_b32 s20, 0
	s_mov_b32 s3, 0
	;; [unrolled: 1-line block ×3, first 2 shown]
	.p2align	6
.LBB4_22:                               ; =>This Inner Loop Header: Depth=1
	v_mov_b32_e32 v8, s20
	s_add_i32 s21, s21, 8
	s_add_i32 s20, s20, 32
	v_cmp_eq_u32_e32 vcc_lo, s21, v1
	ds_load_b128 v[4:7], v8
	ds_load_b128 v[8:11], v8 offset:16
	s_or_b32 s3, vcc_lo, s3
	s_waitcnt lgkmcnt(1)
	v_add_nc_u32_e32 v3, v4, v3
	s_delay_alu instid0(VALU_DEP_1) | instskip(NEXT) | instid1(VALU_DEP_1)
	v_add_nc_u32_e32 v3, v5, v3
	v_add_nc_u32_e32 v3, v6, v3
	s_delay_alu instid0(VALU_DEP_1) | instskip(SKIP_1) | instid1(VALU_DEP_1)
	v_add_nc_u32_e32 v3, v7, v3
	s_waitcnt lgkmcnt(0)
	v_add_nc_u32_e32 v3, v8, v3
	s_delay_alu instid0(VALU_DEP_1) | instskip(NEXT) | instid1(VALU_DEP_1)
	v_add_nc_u32_e32 v3, v9, v3
	v_add_nc_u32_e32 v3, v10, v3
	s_delay_alu instid0(VALU_DEP_1)
	v_add_nc_u32_e32 v3, v11, v3
	s_and_not1_b32 exec_lo, exec_lo, s3
	s_cbranch_execnz .LBB4_22
; %bb.23:
	s_or_b32 exec_lo, exec_lo, s3
.LBB4_24:
	s_delay_alu instid0(SALU_CYCLE_1) | instskip(SKIP_3) | instid1(VALU_DEP_1)
	s_or_b32 exec_lo, exec_lo, s1
	v_and_b32_e32 v4, 7, v0
	s_mov_b32 s3, 0
	s_mov_b32 s1, exec_lo
	v_cmpx_ne_u32_e32 0, v4
	s_cbranch_execz .LBB4_28
; %bb.25:
	v_lshlrev_b32_e32 v1, 2, v1
.LBB4_26:                               ; =>This Inner Loop Header: Depth=1
	ds_load_b32 v5, v1
	v_add_nc_u32_e32 v4, -1, v4
	v_add_nc_u32_e32 v1, 4, v1
	s_delay_alu instid0(VALU_DEP_2)
	v_cmp_eq_u32_e32 vcc_lo, 0, v4
	s_or_b32 s3, vcc_lo, s3
	s_waitcnt lgkmcnt(0)
	v_add_nc_u32_e32 v3, v5, v3
	s_and_not1_b32 exec_lo, exec_lo, s3
	s_cbranch_execnz .LBB4_26
; %bb.27:
	s_or_b32 exec_lo, exec_lo, s3
.LBB4_28:
	s_delay_alu instid0(SALU_CYCLE_1)
	s_or_b32 exec_lo, exec_lo, s1
.LBB4_29:
	s_delay_alu instid0(SALU_CYCLE_1)
	s_or_b32 exec_lo, exec_lo, s0
	s_mov_b32 s3, 0
	s_mov_b32 s1, exec_lo
	v_cmpx_lt_i32_e32 0, v2
	s_cbranch_execz .LBB4_32
; %bb.30:
	v_ashrrev_i32_e32 v4, 31, v3
	s_add_u32 s0, s28, s12
	s_addc_u32 s20, s29, s13
	v_mov_b32_e32 v1, v2
	s_delay_alu instid0(VALU_DEP_2) | instskip(SKIP_2) | instid1(VALU_DEP_3)
	v_lshlrev_b64 v[6:7], 2, v[3:4]
	v_add_co_u32 v4, vcc_lo, v14, 8
	v_add_co_ci_u32_e32 v5, vcc_lo, 0, v15, vcc_lo
	v_add_co_u32 v6, vcc_lo, s0, v6
	s_delay_alu instid0(VALU_DEP_4)
	v_add_co_ci_u32_e32 v7, vcc_lo, s20, v7, vcc_lo
	.p2align	6
.LBB4_31:                               ; =>This Inner Loop Header: Depth=1
	global_load_b32 v8, v[4:5], off
	v_add_nc_u32_e32 v1, -1, v1
	v_add_co_u32 v4, vcc_lo, v4, 4
	v_add_co_ci_u32_e32 v5, vcc_lo, 0, v5, vcc_lo
	s_delay_alu instid0(VALU_DEP_3)
	v_cmp_eq_u32_e32 vcc_lo, 0, v1
	s_or_b32 s3, vcc_lo, s3
	s_waitcnt vmcnt(0)
	v_add_nc_u32_e32 v8, 1, v8
	global_store_b32 v[6:7], v8, off
	v_add_co_u32 v6, s0, v6, 4
	s_delay_alu instid0(VALU_DEP_1)
	v_add_co_ci_u32_e64 v7, s0, 0, v7, s0
	s_and_not1_b32 exec_lo, exec_lo, s3
	s_cbranch_execnz .LBB4_31
.LBB4_32:
	s_or_b32 exec_lo, exec_lo, s1
	v_cmp_eq_u32_e64 s0, 0xff, v0
	s_delay_alu instid0(VALU_DEP_1)
	s_and_saveexec_b32 s1, s0
; %bb.33:
	v_dual_mov_b32 v4, s5 :: v_dual_add_nc_u32 v1, v3, v2
	v_mov_b32_e32 v5, 0
	s_delay_alu instid0(VALU_DEP_2) | instskip(NEXT) | instid1(VALU_DEP_1)
	v_ashrrev_i32_e32 v2, 31, v1
	v_lshlrev_b64 v[2:3], 2, v[1:2]
	s_delay_alu instid0(VALU_DEP_1) | instskip(NEXT) | instid1(VALU_DEP_2)
	v_add_co_u32 v2, vcc_lo, s44, v2
	v_add_co_ci_u32_e32 v3, vcc_lo, s45, v3, vcc_lo
	s_clause 0x2
	global_store_b32 v[2:3], v4, off
	global_store_b32 v5, v5, s[44:45]
	global_store_b32 v5, v1, s[42:43] offset:4
; %bb.34:
	s_or_b32 exec_lo, exec_lo, s1
	v_bfrev_b32_e32 v4, -2
	v_mov_b32_e32 v3, 0
	s_mov_b32 s3, exec_lo
	s_waitcnt_vscnt null, 0x0
	s_barrier
	buffer_gl0_inv
	v_cmpx_gt_i32_e64 s33, v0
	s_cbranch_execz .LBB4_38
; %bb.35:
	s_add_i32 s1, s14, 2
	v_mov_b32_e32 v3, 0
	s_mul_i32 s20, s15, s1
	v_bfrev_b32_e32 v4, -2
	s_ashr_i32 s21, s20, 31
	v_mov_b32_e32 v5, v0
	s_lshl_b64 s[20:21], s[20:21], 2
	s_delay_alu instid0(SALU_CYCLE_1) | instskip(SKIP_2) | instid1(VALU_DEP_1)
	s_add_u32 s1, s30, s20
	s_addc_u32 s20, s31, s21
	v_add_co_u32 v1, s1, s1, v12
	v_add_co_ci_u32_e64 v2, null, s20, 0, s1
	s_mov_b32 s20, 0
	s_delay_alu instid0(VALU_DEP_2) | instskip(NEXT) | instid1(VALU_DEP_2)
	v_add_co_u32 v1, vcc_lo, v1, 12
	v_add_co_ci_u32_e32 v2, vcc_lo, 0, v2, vcc_lo
	.p2align	6
.LBB4_36:                               ; =>This Inner Loop Header: Depth=1
	global_load_b32 v6, v[1:2], off
	v_cmp_eq_u32_e32 vcc_lo, 0x7fffffff, v4
	v_add_nc_u32_e32 v7, 1, v5
	v_add_co_u32 v1, s1, 0x400, v1
	s_delay_alu instid0(VALU_DEP_1) | instskip(SKIP_2) | instid1(VALU_DEP_1)
	v_add_co_ci_u32_e64 v2, s1, 0, v2, s1
	s_waitcnt vmcnt(0)
	v_cmp_lt_f32_e64 s21, v3, |v6|
	s_or_b32 vcc_lo, s21, vcc_lo
	v_dual_cndmask_b32 v4, v4, v7 :: v_dual_add_nc_u32 v5, 0x100, v5
	v_cndmask_b32_e64 v3, v3, |v6|, vcc_lo
	s_delay_alu instid0(VALU_DEP_2) | instskip(NEXT) | instid1(VALU_DEP_1)
	v_cmp_le_i32_e64 s1, s33, v5
	s_or_b32 s20, s1, s20
	s_delay_alu instid0(SALU_CYCLE_1)
	s_and_not1_b32 exec_lo, exec_lo, s20
	s_cbranch_execnz .LBB4_36
; %bb.37:
	s_or_b32 exec_lo, exec_lo, s20
.LBB4_38:
	s_delay_alu instid0(SALU_CYCLE_1)
	s_or_b32 exec_lo, exec_lo, s3
	s_cmp_lt_i32 s5, 3
	ds_store_b32 v12, v3 offset:1024
	ds_store_b32 v12, v4
	s_waitcnt lgkmcnt(0)
	s_barrier
	buffer_gl0_inv
	s_cbranch_scc1 .LBB4_75
; %bb.39:
	v_or_b32_e32 v1, 0x400, v12
	s_mov_b32 s3, exec_lo
	v_cmpx_gt_u32_e32 0x80, v0
	s_cbranch_execz .LBB4_45
; %bb.40:
	ds_load_b32 v2, v1 offset:512
	ds_load_b32 v5, v12 offset:512
	s_mov_b32 s21, exec_lo
	s_waitcnt lgkmcnt(1)
	v_cmp_lt_f32_e64 s20, v3, v2
	v_cmpx_nlt_f32_e32 v3, v2
	s_cbranch_execz .LBB4_42
; %bb.41:
	v_cmp_eq_f32_e32 vcc_lo, v3, v2
	s_waitcnt lgkmcnt(0)
	v_cmp_gt_i32_e64 s1, v4, v5
	s_and_not1_b32 s20, s20, exec_lo
	s_delay_alu instid0(VALU_DEP_1) | instskip(NEXT) | instid1(SALU_CYCLE_1)
	s_and_b32 s1, vcc_lo, s1
	s_and_b32 s1, s1, exec_lo
	s_delay_alu instid0(SALU_CYCLE_1)
	s_or_b32 s20, s20, s1
.LBB4_42:
	s_or_b32 exec_lo, exec_lo, s21
	s_delay_alu instid0(VALU_DEP_2)
	s_and_saveexec_b32 s1, s20
	s_cbranch_execz .LBB4_44
; %bb.43:
	s_waitcnt lgkmcnt(0)
	v_dual_mov_b32 v4, v5 :: v_dual_mov_b32 v3, v2
	ds_store_b32 v1, v2
	ds_store_b32 v12, v5
.LBB4_44:
	s_or_b32 exec_lo, exec_lo, s1
.LBB4_45:
	s_delay_alu instid0(SALU_CYCLE_1) | instskip(NEXT) | instid1(SALU_CYCLE_1)
	s_or_b32 exec_lo, exec_lo, s3
	s_mov_b32 s3, exec_lo
	s_waitcnt lgkmcnt(0)
	s_barrier
	buffer_gl0_inv
	v_cmpx_gt_u32_e32 64, v0
	s_cbranch_execz .LBB4_51
; %bb.46:
	ds_load_b32 v2, v1 offset:256
	ds_load_b32 v5, v12 offset:256
	s_mov_b32 s21, exec_lo
	s_waitcnt lgkmcnt(1)
	v_cmp_lt_f32_e64 s20, v3, v2
	v_cmpx_nlt_f32_e32 v3, v2
	s_cbranch_execz .LBB4_48
; %bb.47:
	v_cmp_eq_f32_e32 vcc_lo, v3, v2
	s_waitcnt lgkmcnt(0)
	v_cmp_gt_i32_e64 s1, v4, v5
	s_and_not1_b32 s20, s20, exec_lo
	s_delay_alu instid0(VALU_DEP_1) | instskip(NEXT) | instid1(SALU_CYCLE_1)
	s_and_b32 s1, vcc_lo, s1
	s_and_b32 s1, s1, exec_lo
	s_delay_alu instid0(SALU_CYCLE_1)
	s_or_b32 s20, s20, s1
.LBB4_48:
	s_or_b32 exec_lo, exec_lo, s21
	s_delay_alu instid0(VALU_DEP_2)
	s_and_saveexec_b32 s1, s20
	s_cbranch_execz .LBB4_50
; %bb.49:
	s_waitcnt lgkmcnt(0)
	v_dual_mov_b32 v4, v5 :: v_dual_mov_b32 v3, v2
	ds_store_b32 v1, v2
	ds_store_b32 v12, v5
.LBB4_50:
	s_or_b32 exec_lo, exec_lo, s1
.LBB4_51:
	s_delay_alu instid0(SALU_CYCLE_1) | instskip(NEXT) | instid1(SALU_CYCLE_1)
	s_or_b32 exec_lo, exec_lo, s3
	s_mov_b32 s20, exec_lo
	s_waitcnt lgkmcnt(0)
	s_barrier
	buffer_gl0_inv
	v_cmpx_gt_u32_e32 32, v0
	s_cbranch_execz .LBB4_74
; %bb.52:
	ds_load_b32 v2, v1 offset:128
	ds_load_b32 v5, v12 offset:128
	s_mov_b32 s21, exec_lo
	s_waitcnt lgkmcnt(1)
	v_cmp_lt_f32_e64 s3, v3, v2
	v_cmpx_nlt_f32_e32 v3, v2
	s_cbranch_execz .LBB4_54
; %bb.53:
	v_cmp_eq_f32_e32 vcc_lo, v3, v2
	s_waitcnt lgkmcnt(0)
	v_cmp_gt_i32_e64 s1, v4, v5
	s_and_not1_b32 s3, s3, exec_lo
	s_delay_alu instid0(VALU_DEP_1) | instskip(NEXT) | instid1(SALU_CYCLE_1)
	s_and_b32 s1, vcc_lo, s1
	s_and_b32 s1, s1, exec_lo
	s_delay_alu instid0(SALU_CYCLE_1)
	s_or_b32 s3, s3, s1
.LBB4_54:
	s_or_b32 exec_lo, exec_lo, s21
	s_delay_alu instid0(VALU_DEP_2)
	s_and_saveexec_b32 s1, s3
	s_cbranch_execz .LBB4_56
; %bb.55:
	s_waitcnt lgkmcnt(0)
	v_dual_mov_b32 v3, v2 :: v_dual_mov_b32 v4, v5
	ds_store_b32 v1, v2
	ds_store_b32 v12, v5
.LBB4_56:
	s_or_b32 exec_lo, exec_lo, s1
	ds_load_b32 v2, v1 offset:64
	s_waitcnt lgkmcnt(1)
	ds_load_b32 v5, v12 offset:64
	s_mov_b32 s21, exec_lo
	s_waitcnt lgkmcnt(1)
	v_cmp_lt_f32_e64 s3, v3, v2
	v_cmpx_nlt_f32_e32 v3, v2
	s_cbranch_execz .LBB4_58
; %bb.57:
	v_cmp_eq_f32_e32 vcc_lo, v3, v2
	s_waitcnt lgkmcnt(0)
	v_cmp_gt_i32_e64 s1, v4, v5
	s_and_not1_b32 s3, s3, exec_lo
	s_delay_alu instid0(VALU_DEP_1) | instskip(NEXT) | instid1(SALU_CYCLE_1)
	s_and_b32 s1, vcc_lo, s1
	s_and_b32 s1, s1, exec_lo
	s_delay_alu instid0(SALU_CYCLE_1)
	s_or_b32 s3, s3, s1
.LBB4_58:
	s_or_b32 exec_lo, exec_lo, s21
	s_delay_alu instid0(VALU_DEP_2)
	s_and_saveexec_b32 s1, s3
	s_cbranch_execz .LBB4_60
; %bb.59:
	s_waitcnt lgkmcnt(0)
	v_dual_mov_b32 v3, v2 :: v_dual_mov_b32 v4, v5
	ds_store_b32 v1, v2
	ds_store_b32 v12, v5
.LBB4_60:
	s_or_b32 exec_lo, exec_lo, s1
	ds_load_b32 v2, v1 offset:32
	s_waitcnt lgkmcnt(1)
	;; [unrolled: 30-line block ×5, first 2 shown]
	ds_load_b32 v5, v12 offset:4
	s_waitcnt lgkmcnt(1)
	v_cmp_eq_f32_e32 vcc_lo, v3, v2
	s_waitcnt lgkmcnt(0)
	v_cmp_gt_i32_e64 s1, v4, v5
	v_cmp_lt_f32_e64 s3, v3, v2
	s_delay_alu instid0(VALU_DEP_2)
	s_and_b32 s1, vcc_lo, s1
	s_delay_alu instid0(VALU_DEP_1) | instid1(SALU_CYCLE_1)
	s_or_b32 s1, s3, s1
	s_delay_alu instid0(SALU_CYCLE_1)
	s_and_b32 exec_lo, exec_lo, s1
	s_cbranch_execz .LBB4_74
; %bb.73:
	ds_store_b32 v1, v2
	ds_store_b32 v12, v5
.LBB4_74:
	s_or_b32 exec_lo, exec_lo, s20
.LBB4_75:
	v_dual_mov_b32 v1, 0 :: v_dual_mov_b32 v4, s7
	s_waitcnt lgkmcnt(0)
	s_barrier
	buffer_gl0_inv
	ds_load_b32 v1, v1 offset:1024
	s_or_b32 s1, s14, 2
	v_mov_b32_e32 v3, s6
	s_mul_i32 s20, s1, s15
	s_delay_alu instid0(SALU_CYCLE_1) | instskip(NEXT) | instid1(SALU_CYCLE_1)
	s_ashr_i32 s21, s20, 31
	s_lshl_b64 s[20:21], s[20:21], 2
	s_delay_alu instid0(SALU_CYCLE_1) | instskip(SKIP_3) | instid1(VALU_DEP_1)
	s_add_u32 s20, s30, s20
	s_addc_u32 s21, s31, s21
	s_waitcnt lgkmcnt(0)
	v_mul_f32_e32 v1, s37, v1
	v_cmp_gt_f32_e32 vcc_lo, s37, v1
	v_cndmask_b32_e64 v2, v1, s37, vcc_lo
	s_and_not1_b32 vcc_lo, exec_lo, s46
	s_cbranch_vccz .LBB4_78
; %bb.76:
	s_and_saveexec_b32 s0, s2
	s_cbranch_execnz .LBB4_128
.LBB4_77:
	s_nop 0
	s_sendmsg sendmsg(MSG_DEALLOC_VGPRS)
	s_endpgm
.LBB4_78:
	s_add_u32 s1, s20, s18
	s_addc_u32 s3, s21, s19
	s_add_u32 s1, s1, s18
	s_addc_u32 s3, s3, s19
	;; [unrolled: 2-line block ×4, first 2 shown]
	s_lshl_b64 s[26:27], s[26:27], 2
	v_dual_mov_b32 v4, s7 :: v_dual_mov_b32 v3, s6
	s_add_u32 s26, s24, s26
	s_addc_u32 s27, s25, s27
	s_lshl_b64 s[24:25], s[40:41], 2
	s_delay_alu instid0(SALU_CYCLE_1)
	s_add_u32 s6, s16, s24
	s_addc_u32 s7, s17, s25
	s_and_saveexec_b32 s3, s2
	s_cbranch_execz .LBB4_86
; %bb.79:
	v_mov_b32_e32 v6, 0
	s_cmp_gt_i32 s5, 1
	s_clause 0x1
	global_load_b32 v1, v6, s[6:7]
	global_load_b32 v4, v6, s[26:27]
	s_cselect_b32 s35, -1, 0
	s_cmp_lt_i32 s5, 2
	s_waitcnt vmcnt(0)
	v_sub_f32_e64 v3, v1, |v4|
	s_delay_alu instid0(VALU_DEP_1) | instskip(NEXT) | instid1(VALU_DEP_1)
	v_sub_f32_e32 v7, v1, v3
	v_cmp_le_f32_e32 vcc_lo, v7, v2
	v_cndmask_b32_e64 v5, 0, 1, vcc_lo
	s_cbranch_scc1 .LBB4_82
; %bb.80:
	s_add_i32 s1, s14, 2
	v_cmp_gt_f32_e64 s37, v7, -v2
	s_mul_i32 s40, s15, s1
	s_delay_alu instid0(SALU_CYCLE_1) | instskip(NEXT) | instid1(VALU_DEP_1)
	s_ashr_i32 s41, s40, 31
	s_and_b32 s1, vcc_lo, s37
	s_lshl_b64 s[40:41], s[40:41], 2
	v_cndmask_b32_e64 v7, v7, -v2, s1
	s_add_u32 s1, s40, s30
	s_addc_u32 s37, s41, s31
	s_add_u32 s40, s1, 12
	s_addc_u32 s41, s37, 0
	;; [unrolled: 2-line block ×4, first 2 shown]
	s_mov_b32 s37, s33
	s_set_inst_prefetch_distance 0x1
	.p2align	6
.LBB4_81:                               ; =>This Inner Loop Header: Depth=1
	s_clause 0x1
	global_load_b32 v8, v6, s[40:41]
	global_load_b32 v9, v6, s[46:47]
	s_add_i32 s37, s37, -1
	s_waitcnt vmcnt(1)
	v_div_scale_f32 v10, null, v7, v7, v8
	v_div_scale_f32 v13, vcc_lo, v8, v7, v8
	s_waitcnt vmcnt(0)
	v_sub_f32_e32 v9, v9, v3
	s_delay_alu instid0(VALU_DEP_3) | instskip(SKIP_2) | instid1(VALU_DEP_1)
	v_rcp_f32_e32 v11, v10
	s_waitcnt_depctr 0xfff
	v_fma_f32 v12, -v10, v11, 1.0
	v_fmac_f32_e32 v11, v12, v11
	s_delay_alu instid0(VALU_DEP_1) | instskip(NEXT) | instid1(VALU_DEP_1)
	v_mul_f32_e32 v12, v13, v11
	v_fma_f32 v14, -v10, v12, v13
	s_delay_alu instid0(VALU_DEP_1) | instskip(NEXT) | instid1(VALU_DEP_1)
	v_fmac_f32_e32 v12, v14, v11
	v_fma_f32 v10, -v10, v12, v13
	s_delay_alu instid0(VALU_DEP_1) | instskip(NEXT) | instid1(VALU_DEP_1)
	v_div_fmas_f32 v10, v10, v11, v12
	v_div_fixup_f32 v7, v10, v7, v8
	s_delay_alu instid0(VALU_DEP_1) | instskip(NEXT) | instid1(VALU_DEP_1)
	v_sub_f32_e32 v7, v9, v7
	v_cmp_le_f32_e32 vcc_lo, v7, v2
	v_cmp_gt_f32_e64 s48, v7, -v2
	v_add_co_ci_u32_e64 v5, s1, 0, v5, vcc_lo
	s_delay_alu instid0(VALU_DEP_2)
	s_and_b32 s1, vcc_lo, s48
	s_add_u32 s40, s40, 4
	v_cndmask_b32_e64 v7, v7, -v2, s1
	s_addc_u32 s41, s41, 0
	s_add_u32 s46, s46, 4
	s_addc_u32 s47, s47, 0
	s_cmp_lg_u32 s37, 0
	s_cbranch_scc1 .LBB4_81
.LBB4_82:
	s_set_inst_prefetch_distance 0x2
	v_and_b32_e32 v4, 0x7fffffff, v4
	s_and_not1_b32 vcc_lo, exec_lo, s35
	s_delay_alu instid0(VALU_DEP_1) | instskip(NEXT) | instid1(VALU_DEP_1)
	v_add_f32_e32 v4, v1, v4
	v_sub_f32_e32 v7, v1, v4
	s_delay_alu instid0(VALU_DEP_1) | instskip(NEXT) | instid1(VALU_DEP_1)
	v_cmp_le_f32_e64 s1, v7, v2
	v_cndmask_b32_e64 v6, 0, 1, s1
	s_cbranch_vccnz .LBB4_85
; %bb.83:
	s_add_i32 s35, s14, 2
	v_cmp_gt_f32_e64 s37, v7, -v2
	s_mul_i32 s40, s15, s35
	v_mov_b32_e32 v1, 0
	s_ashr_i32 s41, s40, 31
	s_delay_alu instid0(VALU_DEP_2)
	s_and_b32 s1, s1, s37
	s_lshl_b64 s[40:41], s[40:41], 2
	v_cndmask_b32_e64 v7, v7, -v2, s1
	s_add_u32 s1, s40, s30
	s_addc_u32 s35, s41, s31
	s_add_u32 s40, s1, 12
	s_addc_u32 s41, s35, 0
	;; [unrolled: 2-line block ×4, first 2 shown]
	s_mov_b32 s35, s33
	s_set_inst_prefetch_distance 0x1
	.p2align	6
.LBB4_84:                               ; =>This Inner Loop Header: Depth=1
	s_clause 0x1
	global_load_b32 v8, v1, s[40:41]
	global_load_b32 v9, v1, s[46:47]
	s_add_i32 s35, s35, -1
	s_waitcnt vmcnt(1)
	v_div_scale_f32 v10, null, v7, v7, v8
	v_div_scale_f32 v13, vcc_lo, v8, v7, v8
	s_waitcnt vmcnt(0)
	v_sub_f32_e32 v9, v9, v4
	s_delay_alu instid0(VALU_DEP_3) | instskip(SKIP_2) | instid1(VALU_DEP_1)
	v_rcp_f32_e32 v11, v10
	s_waitcnt_depctr 0xfff
	v_fma_f32 v12, -v10, v11, 1.0
	v_fmac_f32_e32 v11, v12, v11
	s_delay_alu instid0(VALU_DEP_1) | instskip(NEXT) | instid1(VALU_DEP_1)
	v_mul_f32_e32 v12, v13, v11
	v_fma_f32 v14, -v10, v12, v13
	s_delay_alu instid0(VALU_DEP_1) | instskip(NEXT) | instid1(VALU_DEP_1)
	v_fmac_f32_e32 v12, v14, v11
	v_fma_f32 v10, -v10, v12, v13
	s_delay_alu instid0(VALU_DEP_1) | instskip(NEXT) | instid1(VALU_DEP_1)
	v_div_fmas_f32 v10, v10, v11, v12
	v_div_fixup_f32 v7, v10, v7, v8
	s_delay_alu instid0(VALU_DEP_1) | instskip(NEXT) | instid1(VALU_DEP_1)
	v_sub_f32_e32 v7, v9, v7
	v_cmp_le_f32_e32 vcc_lo, v7, v2
	v_cmp_gt_f32_e64 s37, v7, -v2
	v_add_co_ci_u32_e64 v6, s1, 0, v6, vcc_lo
	s_delay_alu instid0(VALU_DEP_2)
	s_and_b32 s1, vcc_lo, s37
	s_add_u32 s40, s40, 4
	v_cndmask_b32_e64 v7, v7, -v2, s1
	s_addc_u32 s41, s41, 0
	s_add_u32 s46, s46, 4
	s_addc_u32 s47, s47, 0
	s_cmp_lg_u32 s35, 0
	s_cbranch_scc1 .LBB4_84
.LBB4_85:
	s_set_inst_prefetch_distance 0x2
	v_mov_b32_e32 v1, 0
	s_clause 0x1
	global_store_b64 v1, v[3:4], s[44:45]
	global_store_b64 v1, v[5:6], s[42:43] offset:8
.LBB4_86:
	s_or_b32 exec_lo, exec_lo, s3
	v_add_nc_u32_e32 v0, 1, v0
	s_add_u32 s3, s42, 8
	s_addc_u32 s35, s43, 0
	s_mov_b32 s37, exec_lo
	s_delay_alu instid0(VALU_DEP_1)
	v_cmpx_gt_i32_e64 s33, v0
	s_cbranch_execz .LBB4_96
; %bb.87:
	s_cmp_gt_i32 s5, 1
	v_mov_b32_e32 v1, 0
	s_cselect_b32 s50, -1, 0
	s_add_u32 s51, s44, 4
	s_addc_u32 s52, s45, 0
	s_add_i32 s1, s14, 2
	s_mov_b32 s53, 0
	s_mul_i32 s40, s15, s1
	s_delay_alu instid0(SALU_CYCLE_1) | instskip(NEXT) | instid1(SALU_CYCLE_1)
	s_ashr_i32 s41, s40, 31
	s_lshl_b64 s[40:41], s[40:41], 2
	s_delay_alu instid0(SALU_CYCLE_1)
	s_add_u32 s1, s40, s30
	s_addc_u32 s41, s41, s31
	s_add_u32 s40, s1, 12
	s_addc_u32 s41, s41, 0
	;; [unrolled: 2-line block ×4, first 2 shown]
	s_branch .LBB4_89
.LBB4_88:                               ;   in Loop: Header=BB4_89 Depth=1
	s_set_inst_prefetch_distance 0x2
	v_dual_mov_b32 v8, v1 :: v_dual_lshlrev_b32 v7, 1, v0
	v_add_nc_u32_e32 v0, 0x100, v0
	s_delay_alu instid0(VALU_DEP_2) | instskip(NEXT) | instid1(VALU_DEP_1)
	v_lshlrev_b64 v[7:8], 2, v[7:8]
	v_add_co_u32 v9, vcc_lo, s44, v7
	s_delay_alu instid0(VALU_DEP_2) | instskip(SKIP_4) | instid1(VALU_DEP_1)
	v_add_co_ci_u32_e32 v10, vcc_lo, s45, v8, vcc_lo
	v_add_co_u32 v11, vcc_lo, s51, v7
	v_add_co_ci_u32_e32 v12, vcc_lo, s52, v8, vcc_lo
	v_cmp_le_i32_e32 vcc_lo, s33, v0
	v_add_co_u32 v7, s1, s3, v7
	v_add_co_ci_u32_e64 v8, s1, s35, v8, s1
	s_or_b32 s53, vcc_lo, s53
	global_store_b32 v[9:10], v3, off
	global_store_b32 v[11:12], v4, off
	global_store_b64 v[7:8], v[5:6], off
	s_and_not1_b32 exec_lo, exec_lo, s53
	s_cbranch_execz .LBB4_95
.LBB4_89:                               ; =>This Loop Header: Depth=1
                                        ;     Child Loop BB4_91 Depth 2
                                        ;     Child Loop BB4_94 Depth 2
	v_lshlrev_b64 v[3:4], 2, v[0:1]
	s_delay_alu instid0(VALU_DEP_1) | instskip(NEXT) | instid1(VALU_DEP_2)
	v_add_co_u32 v5, vcc_lo, s26, v3
	v_add_co_ci_u32_e32 v6, vcc_lo, s27, v4, vcc_lo
	v_add_co_u32 v3, vcc_lo, s6, v3
	v_add_co_ci_u32_e32 v4, vcc_lo, s7, v4, vcc_lo
	s_and_not1_b32 vcc_lo, exec_lo, s50
	global_load_b64 v[7:8], v[5:6], off offset:-4
	s_clause 0x1
	global_load_b32 v4, v[3:4], off
	global_load_b32 v6, v1, s[6:7]
	s_waitcnt vmcnt(2)
	v_add_f32_e64 v7, |v8|, |v7|
	s_waitcnt vmcnt(1)
	s_delay_alu instid0(VALU_DEP_1) | instskip(SKIP_1) | instid1(VALU_DEP_1)
	v_sub_f32_e32 v3, v4, v7
	s_waitcnt vmcnt(0)
	v_sub_f32_e32 v8, v6, v3
	s_delay_alu instid0(VALU_DEP_1) | instskip(NEXT) | instid1(VALU_DEP_1)
	v_cmp_le_f32_e64 s1, v8, v2
	v_cndmask_b32_e64 v5, 0, 1, s1
	s_cbranch_vccnz .LBB4_92
; %bb.90:                               ;   in Loop: Header=BB4_89 Depth=1
	v_cmp_gt_f32_e64 s46, v8, -v2
	s_mov_b64 s[48:49], s[40:41]
	s_mov_b32 s54, s33
	s_delay_alu instid0(VALU_DEP_1)
	s_and_b32 s1, s1, s46
	s_mov_b64 s[46:47], s[42:43]
	v_cndmask_b32_e64 v8, v8, -v2, s1
	s_set_inst_prefetch_distance 0x1
	.p2align	6
.LBB4_91:                               ;   Parent Loop BB4_89 Depth=1
                                        ; =>  This Inner Loop Header: Depth=2
	s_clause 0x1
	global_load_b32 v9, v1, s[48:49]
	global_load_b32 v10, v1, s[46:47]
	s_add_i32 s54, s54, -1
	s_waitcnt vmcnt(1)
	v_div_scale_f32 v11, null, v8, v8, v9
	v_div_scale_f32 v14, vcc_lo, v9, v8, v9
	s_waitcnt vmcnt(0)
	v_sub_f32_e32 v10, v10, v3
	s_delay_alu instid0(VALU_DEP_3) | instskip(SKIP_2) | instid1(VALU_DEP_1)
	v_rcp_f32_e32 v12, v11
	s_waitcnt_depctr 0xfff
	v_fma_f32 v13, -v11, v12, 1.0
	v_fmac_f32_e32 v12, v13, v12
	s_delay_alu instid0(VALU_DEP_1) | instskip(NEXT) | instid1(VALU_DEP_1)
	v_mul_f32_e32 v13, v14, v12
	v_fma_f32 v15, -v11, v13, v14
	s_delay_alu instid0(VALU_DEP_1) | instskip(NEXT) | instid1(VALU_DEP_1)
	v_fmac_f32_e32 v13, v15, v12
	v_fma_f32 v11, -v11, v13, v14
	s_delay_alu instid0(VALU_DEP_1) | instskip(NEXT) | instid1(VALU_DEP_1)
	v_div_fmas_f32 v11, v11, v12, v13
	v_div_fixup_f32 v8, v11, v8, v9
	s_delay_alu instid0(VALU_DEP_1) | instskip(NEXT) | instid1(VALU_DEP_1)
	v_sub_f32_e32 v8, v10, v8
	v_cmp_le_f32_e32 vcc_lo, v8, v2
	v_cmp_gt_f32_e64 s55, v8, -v2
	v_add_co_ci_u32_e64 v5, s1, 0, v5, vcc_lo
	s_delay_alu instid0(VALU_DEP_2)
	s_and_b32 s1, vcc_lo, s55
	s_add_u32 s48, s48, 4
	v_cndmask_b32_e64 v8, v8, -v2, s1
	s_addc_u32 s49, s49, 0
	s_add_u32 s46, s46, 4
	s_addc_u32 s47, s47, 0
	s_cmp_lg_u32 s54, 0
	s_cbranch_scc1 .LBB4_91
.LBB4_92:                               ;   in Loop: Header=BB4_89 Depth=1
	s_set_inst_prefetch_distance 0x2
	v_add_f32_e32 v4, v4, v7
	s_and_not1_b32 vcc_lo, exec_lo, s50
	s_delay_alu instid0(VALU_DEP_1) | instskip(NEXT) | instid1(VALU_DEP_1)
	v_sub_f32_e32 v7, v6, v4
	v_cmp_le_f32_e64 s1, v7, v2
	s_delay_alu instid0(VALU_DEP_1)
	v_cndmask_b32_e64 v6, 0, 1, s1
	s_cbranch_vccnz .LBB4_88
; %bb.93:                               ;   in Loop: Header=BB4_89 Depth=1
	v_cmp_gt_f32_e64 s46, v7, -v2
	s_mov_b64 s[48:49], s[40:41]
	s_mov_b32 s54, s33
	s_delay_alu instid0(VALU_DEP_1)
	s_and_b32 s1, s1, s46
	s_mov_b64 s[46:47], s[42:43]
	v_cndmask_b32_e64 v7, v7, -v2, s1
	s_set_inst_prefetch_distance 0x1
	.p2align	6
.LBB4_94:                               ;   Parent Loop BB4_89 Depth=1
                                        ; =>  This Inner Loop Header: Depth=2
	s_clause 0x1
	global_load_b32 v8, v1, s[48:49]
	global_load_b32 v9, v1, s[46:47]
	s_add_i32 s54, s54, -1
	s_waitcnt vmcnt(1)
	v_div_scale_f32 v10, null, v7, v7, v8
	v_div_scale_f32 v13, vcc_lo, v8, v7, v8
	s_waitcnt vmcnt(0)
	v_sub_f32_e32 v9, v9, v4
	s_delay_alu instid0(VALU_DEP_3) | instskip(SKIP_2) | instid1(VALU_DEP_1)
	v_rcp_f32_e32 v11, v10
	s_waitcnt_depctr 0xfff
	v_fma_f32 v12, -v10, v11, 1.0
	v_fmac_f32_e32 v11, v12, v11
	s_delay_alu instid0(VALU_DEP_1) | instskip(NEXT) | instid1(VALU_DEP_1)
	v_mul_f32_e32 v12, v13, v11
	v_fma_f32 v14, -v10, v12, v13
	s_delay_alu instid0(VALU_DEP_1) | instskip(NEXT) | instid1(VALU_DEP_1)
	v_fmac_f32_e32 v12, v14, v11
	v_fma_f32 v10, -v10, v12, v13
	s_delay_alu instid0(VALU_DEP_1) | instskip(NEXT) | instid1(VALU_DEP_1)
	v_div_fmas_f32 v10, v10, v11, v12
	v_div_fixup_f32 v7, v10, v7, v8
	s_delay_alu instid0(VALU_DEP_1) | instskip(NEXT) | instid1(VALU_DEP_1)
	v_sub_f32_e32 v7, v9, v7
	v_cmp_le_f32_e32 vcc_lo, v7, v2
	v_cmp_gt_f32_e64 s55, v7, -v2
	v_add_co_ci_u32_e64 v6, s1, 0, v6, vcc_lo
	s_delay_alu instid0(VALU_DEP_2)
	s_and_b32 s1, vcc_lo, s55
	s_add_u32 s48, s48, 4
	v_cndmask_b32_e64 v7, v7, -v2, s1
	s_addc_u32 s49, s49, 0
	s_add_u32 s46, s46, 4
	s_addc_u32 s47, s47, 0
	s_cmp_lg_u32 s54, 0
	s_cbranch_scc1 .LBB4_94
	s_branch .LBB4_88
.LBB4_95:
	s_or_b32 exec_lo, exec_lo, s53
.LBB4_96:
	s_delay_alu instid0(SALU_CYCLE_1)
	s_or_b32 exec_lo, exec_lo, s37
	s_and_saveexec_b32 s1, s0
	s_cbranch_execz .LBB4_104
; %bb.97:
	s_add_u32 s40, s6, s18
	v_mov_b32_e32 v6, 0
	s_addc_u32 s41, s7, s19
	s_add_u32 s26, s26, s18
	s_addc_u32 s27, s27, s19
	s_clause 0x2
	global_load_b32 v5, v6, s[26:27] offset:-8
	global_load_b32 v4, v6, s[40:41] offset:-4
	global_load_b32 v1, v6, s[6:7]
	s_cmp_gt_i32 s5, 1
	s_cselect_b32 s37, -1, 0
	s_cmp_lt_i32 s5, 2
	s_waitcnt vmcnt(1)
	v_sub_f32_e64 v3, v4, |v5|
	s_waitcnt vmcnt(0)
	s_delay_alu instid0(VALU_DEP_1) | instskip(NEXT) | instid1(VALU_DEP_1)
	v_sub_f32_e32 v7, v1, v3
	v_cmp_le_f32_e32 vcc_lo, v7, v2
	v_cndmask_b32_e64 v0, 0, 1, vcc_lo
	s_cbranch_scc1 .LBB4_100
; %bb.98:
	s_add_i32 s0, s14, 2
	v_cmp_gt_f32_e64 s26, v7, -v2
	s_mul_i32 s6, s15, s0
	s_mov_b32 s40, s33
	s_ashr_i32 s7, s6, 31
	s_delay_alu instid0(VALU_DEP_1)
	s_and_b32 s0, vcc_lo, s26
	s_lshl_b64 s[6:7], s[6:7], 2
	v_cndmask_b32_e64 v7, v7, -v2, s0
	s_add_u32 s0, s6, s30
	s_addc_u32 s7, s7, s31
	s_add_u32 s6, s0, 12
	s_addc_u32 s7, s7, 0
	;; [unrolled: 2-line block ×4, first 2 shown]
	s_set_inst_prefetch_distance 0x1
	.p2align	6
.LBB4_99:                               ; =>This Inner Loop Header: Depth=1
	s_clause 0x1
	global_load_b32 v8, v6, s[6:7]
	global_load_b32 v9, v6, s[26:27]
	s_add_i32 s40, s40, -1
	s_waitcnt vmcnt(1)
	v_div_scale_f32 v10, null, v7, v7, v8
	v_div_scale_f32 v13, vcc_lo, v8, v7, v8
	s_waitcnt vmcnt(0)
	v_sub_f32_e32 v9, v9, v3
	s_delay_alu instid0(VALU_DEP_3) | instskip(SKIP_2) | instid1(VALU_DEP_1)
	v_rcp_f32_e32 v11, v10
	s_waitcnt_depctr 0xfff
	v_fma_f32 v12, -v10, v11, 1.0
	v_fmac_f32_e32 v11, v12, v11
	s_delay_alu instid0(VALU_DEP_1) | instskip(NEXT) | instid1(VALU_DEP_1)
	v_mul_f32_e32 v12, v13, v11
	v_fma_f32 v14, -v10, v12, v13
	s_delay_alu instid0(VALU_DEP_1) | instskip(NEXT) | instid1(VALU_DEP_1)
	v_fmac_f32_e32 v12, v14, v11
	v_fma_f32 v10, -v10, v12, v13
	s_delay_alu instid0(VALU_DEP_1) | instskip(NEXT) | instid1(VALU_DEP_1)
	v_div_fmas_f32 v10, v10, v11, v12
	v_div_fixup_f32 v7, v10, v7, v8
	s_delay_alu instid0(VALU_DEP_1) | instskip(NEXT) | instid1(VALU_DEP_1)
	v_sub_f32_e32 v7, v9, v7
	v_cmp_le_f32_e32 vcc_lo, v7, v2
	v_cmp_gt_f32_e64 s41, v7, -v2
	v_add_co_ci_u32_e64 v0, s0, 0, v0, vcc_lo
	s_delay_alu instid0(VALU_DEP_2)
	s_and_b32 s0, vcc_lo, s41
	s_add_u32 s6, s6, 4
	v_cndmask_b32_e64 v7, v7, -v2, s0
	s_addc_u32 s7, s7, 0
	s_add_u32 s26, s26, 4
	s_addc_u32 s27, s27, 0
	s_cmp_lg_u32 s40, 0
	s_cbranch_scc1 .LBB4_99
.LBB4_100:
	s_set_inst_prefetch_distance 0x2
	v_and_b32_e32 v5, 0x7fffffff, v5
	s_and_not1_b32 vcc_lo, exec_lo, s37
	s_delay_alu instid0(VALU_DEP_1) | instskip(NEXT) | instid1(VALU_DEP_1)
	v_add_f32_e32 v4, v4, v5
	v_sub_f32_e32 v5, v1, v4
	s_delay_alu instid0(VALU_DEP_1) | instskip(NEXT) | instid1(VALU_DEP_1)
	v_cmp_le_f32_e64 s0, v5, v2
	v_cndmask_b32_e64 v1, 0, 1, s0
	s_cbranch_vccnz .LBB4_103
; %bb.101:
	s_add_i32 s6, s14, 2
	v_cmp_gt_f32_e64 s26, v5, -v2
	s_mul_i32 s6, s15, s6
	v_mov_b32_e32 v6, 0
	s_ashr_i32 s7, s6, 31
	s_delay_alu instid0(VALU_DEP_2)
	s_and_b32 s0, s0, s26
	s_lshl_b64 s[6:7], s[6:7], 2
	v_cndmask_b32_e64 v5, v5, -v2, s0
	s_add_u32 s0, s6, s30
	s_addc_u32 s7, s7, s31
	s_add_u32 s6, s0, 12
	s_addc_u32 s7, s7, 0
	s_add_u32 s0, s16, s24
	s_addc_u32 s17, s17, s25
	s_add_u32 s16, s0, 4
	s_addc_u32 s17, s17, 0
	s_set_inst_prefetch_distance 0x1
	.p2align	6
.LBB4_102:                              ; =>This Inner Loop Header: Depth=1
	s_clause 0x1
	global_load_b32 v7, v6, s[6:7]
	global_load_b32 v8, v6, s[16:17]
	s_add_i32 s33, s33, -1
	s_waitcnt vmcnt(1)
	v_div_scale_f32 v9, null, v5, v5, v7
	v_div_scale_f32 v12, vcc_lo, v7, v5, v7
	s_waitcnt vmcnt(0)
	v_sub_f32_e32 v8, v8, v4
	s_delay_alu instid0(VALU_DEP_3) | instskip(SKIP_2) | instid1(VALU_DEP_1)
	v_rcp_f32_e32 v10, v9
	s_waitcnt_depctr 0xfff
	v_fma_f32 v11, -v9, v10, 1.0
	v_fmac_f32_e32 v10, v11, v10
	s_delay_alu instid0(VALU_DEP_1) | instskip(NEXT) | instid1(VALU_DEP_1)
	v_mul_f32_e32 v11, v12, v10
	v_fma_f32 v13, -v9, v11, v12
	s_delay_alu instid0(VALU_DEP_1) | instskip(NEXT) | instid1(VALU_DEP_1)
	v_fmac_f32_e32 v11, v13, v10
	v_fma_f32 v9, -v9, v11, v12
	s_delay_alu instid0(VALU_DEP_1) | instskip(NEXT) | instid1(VALU_DEP_1)
	v_div_fmas_f32 v9, v9, v10, v11
	v_div_fixup_f32 v5, v9, v5, v7
	s_delay_alu instid0(VALU_DEP_1) | instskip(NEXT) | instid1(VALU_DEP_1)
	v_sub_f32_e32 v5, v8, v5
	v_cmp_le_f32_e32 vcc_lo, v5, v2
	v_cmp_gt_f32_e64 s24, v5, -v2
	v_add_co_ci_u32_e64 v1, s0, 0, v1, vcc_lo
	s_delay_alu instid0(VALU_DEP_2)
	s_and_b32 s0, vcc_lo, s24
	s_add_u32 s6, s6, 4
	v_cndmask_b32_e64 v5, v5, -v2, s0
	s_addc_u32 s7, s7, 0
	s_add_u32 s16, s16, 4
	s_addc_u32 s17, s17, 0
	s_cmp_lg_u32 s33, 0
	s_cbranch_scc1 .LBB4_102
.LBB4_103:
	s_set_inst_prefetch_distance 0x2
	v_mov_b32_e32 v5, 0
	s_add_u32 s6, s44, s38
	s_addc_u32 s7, s45, s39
	s_add_u32 s16, s3, s38
	s_addc_u32 s17, s35, s39
	s_clause 0x1
	global_store_b64 v5, v[3:4], s[6:7] offset:-8
	global_store_b64 v5, v[0:1], s[16:17] offset:-8
.LBB4_104:
	s_or_b32 exec_lo, exec_lo, s1
	s_waitcnt_vscnt null, 0x0
	s_barrier
	buffer_gl0_inv
	s_and_saveexec_b32 s26, s2
	s_cbranch_execz .LBB4_127
; %bb.105:
	s_cmp_gt_i32 s5, 0
	s_mov_b32 s0, 1
	s_cselect_b32 s27, -1, 0
	s_cmp_lt_i32 s5, 1
	s_cbranch_scc1 .LBB4_112
; %bb.106:
	s_add_u32 s33, s44, -4
	s_addc_u32 s37, s45, -1
	s_add_u32 s40, s3, -4
	s_addc_u32 s41, s35, -1
	s_add_i32 s14, s14, 2
	s_lshl_b64 s[10:11], s[10:11], 3
	s_mul_i32 s6, s15, s14
	v_mov_b32_e32 v0, 0
	s_ashr_i32 s7, s6, 31
	s_delay_alu instid0(SALU_CYCLE_1) | instskip(NEXT) | instid1(SALU_CYCLE_1)
	s_lshl_b64 s[6:7], s[6:7], 2
	s_add_u32 s1, s10, s6
	s_addc_u32 s6, s11, s7
	s_add_u32 s1, s1, s30
	s_addc_u32 s7, s6, s31
	;; [unrolled: 2-line block ×3, first 2 shown]
	s_branch .LBB4_108
.LBB4_107:                              ;   in Loop: Header=BB4_108 Depth=1
	s_add_i32 s0, s0, 1
	s_add_u32 s6, s6, 4
	s_addc_u32 s7, s7, 0
	s_cmp_lg_u32 s0, s34
	s_cbranch_scc0 .LBB4_112
.LBB4_108:                              ; =>This Loop Header: Depth=1
                                        ;     Child Loop BB4_109 Depth 2
	s_ashr_i32 s1, s0, 31
	s_mov_b64 s[24:25], s[6:7]
	s_lshl_b64 s[14:15], s[0:1], 2
	s_add_i32 s1, s0, -1
	s_add_u32 s10, s33, s14
	s_addc_u32 s11, s37, s15
	s_mov_b32 s17, s0
	global_load_b32 v1, v0, s[10:11]
	s_mov_b32 s16, s1
	s_waitcnt vmcnt(0)
	v_mov_b32_e32 v3, v1
.LBB4_109:                              ;   Parent Loop BB4_108 Depth=1
                                        ; =>  This Inner Loop Header: Depth=2
	global_load_b32 v4, v0, s[24:25]
	s_waitcnt vmcnt(0)
	v_cmp_lt_f32_e32 vcc_lo, v4, v3
	s_and_b32 s30, vcc_lo, exec_lo
	v_cndmask_b32_e32 v3, v3, v4, vcc_lo
	s_cselect_b32 s16, s17, s16
	s_add_i32 s17, s17, 1
	s_add_u32 s24, s24, 4
	s_addc_u32 s25, s25, 0
	s_cmp_ge_i32 s17, s34
	s_cbranch_scc0 .LBB4_109
; %bb.110:                              ;   in Loop: Header=BB4_108 Depth=1
	s_cmp_lg_u32 s16, s1
	s_cbranch_scc0 .LBB4_107
; %bb.111:                              ;   in Loop: Header=BB4_108 Depth=1
	s_ashr_i32 s17, s16, 31
	s_delay_alu instid0(SALU_CYCLE_1) | instskip(NEXT) | instid1(SALU_CYCLE_1)
	s_lshl_b64 s[16:17], s[16:17], 2
	s_add_u32 s24, s44, s16
	s_addc_u32 s25, s45, s17
	s_add_u32 s16, s3, s16
	s_addc_u32 s17, s35, s17
	;; [unrolled: 2-line block ×3, first 2 shown]
	s_clause 0x1
	global_load_b32 v4, v0, s[14:15]
	global_load_b32 v5, v0, s[16:17]
	s_clause 0x1
	global_store_b32 v0, v1, s[24:25]
	global_store_b32 v0, v3, s[10:11]
	s_waitcnt vmcnt(1)
	global_store_b32 v0, v4, s[16:17]
	s_waitcnt vmcnt(0)
	global_store_b32 v0, v5, s[14:15]
	s_branch .LBB4_107
.LBB4_112:
	v_mov_b32_e32 v1, 0
	s_add_u32 s0, s22, s38
	s_addc_u32 s1, s23, s39
	v_cvt_f32_i32_e32 v5, s5
	s_clause 0x1
	global_load_b32 v3, v1, s[22:23] offset:-4
	global_load_b32 v4, v1, s[0:1] offset:-8
	s_waitcnt vmcnt(0)
	v_cmp_lt_f32_e64 vcc_lo, |v3|, |v4|
	v_cndmask_b32_e32 v0, v3, v4, vcc_lo
	s_and_not1_b32 vcc_lo, exec_lo, s27
	s_delay_alu instid0(VALU_DEP_1) | instskip(SKIP_1) | instid1(VALU_DEP_2)
	v_mul_f32_e64 v6, |v0|, s36
	v_cndmask_b32_e64 v0, 0, 1, s27
	v_fma_f32 v3, -v6, v5, v3
	s_delay_alu instid0(VALU_DEP_1) | instskip(NEXT) | instid1(VALU_DEP_1)
	v_dual_fmac_f32 v4, v6, v5 :: v_dual_sub_f32 v3, v3, v2
	v_add_f32_e32 v4, v2, v4
	s_clause 0x1
	global_store_b32 v1, v3, s[22:23] offset:-4
	global_store_b32 v1, v4, s[0:1] offset:-8
	s_cbranch_vccnz .LBB4_118
; %bb.113:
	s_max_i32 s3, s34, 2
	s_mov_b32 s5, 0
	s_add_i32 s3, s3, -1
	s_add_u32 s0, s18, s12
	s_addc_u32 s1, s19, s13
	s_add_u32 s0, s0, s28
	s_addc_u32 s1, s1, s29
	;; [unrolled: 2-line block ×3, first 2 shown]
	s_branch .LBB4_115
	.p2align	6
.LBB4_114:                              ;   in Loop: Header=BB4_115 Depth=1
	s_add_i32 s5, s5, 1
	s_add_u32 s0, s0, 4
	s_addc_u32 s1, s1, 0
	s_cmp_eq_u32 s3, s5
	s_mov_b32 s6, s3
	s_cselect_b32 s7, -1, 0
	s_delay_alu instid0(SALU_CYCLE_1)
	s_and_not1_b32 vcc_lo, exec_lo, s7
	s_cbranch_vccz .LBB4_117
.LBB4_115:                              ; =>This Inner Loop Header: Depth=1
	global_load_b32 v3, v1, s[0:1]
	s_waitcnt vmcnt(0)
	v_cmp_le_i32_e32 vcc_lo, s8, v3
	s_cbranch_vccz .LBB4_114
; %bb.116:
	s_mov_b32 s6, s5
                                        ; implicit-def: $sgpr0_sgpr1
.LBB4_117:
	s_mov_b32 s7, 0
	s_branch .LBB4_119
.LBB4_118:
	s_mov_b64 s[6:7], 0
.LBB4_119:
	s_delay_alu instid0(SALU_CYCLE_1)
	s_lshl_b64 s[0:1], s[6:7], 2
	v_mov_b32_e32 v1, 0
	s_add_u32 s0, s22, s0
	s_addc_u32 s1, s23, s1
	v_cmp_ne_u32_e32 vcc_lo, 1, v0
	s_mov_b32 s3, 1
	global_load_b32 v3, v1, s[0:1] offset:-4
	s_cbranch_vccnz .LBB4_125
; %bb.120:
	s_max_i32 s5, s34, 2
	s_delay_alu instid0(SALU_CYCLE_1)
	s_add_i32 s7, s5, -1
	s_add_u32 s0, s18, s12
	s_addc_u32 s1, s19, s13
	s_add_u32 s0, s0, s28
	s_addc_u32 s1, s1, s29
	;; [unrolled: 2-line block ×3, first 2 shown]
	s_branch .LBB4_122
	.p2align	6
.LBB4_121:
	s_mov_b32 s6, s3
                                        ; implicit-def: $sgpr0_sgpr1
	s_branch .LBB4_124
.LBB4_122:                              ; =>This Inner Loop Header: Depth=1
	global_load_b32 v0, v1, s[0:1]
	s_waitcnt vmcnt(0)
	v_cmp_gt_i32_e32 vcc_lo, s9, v0
	s_cbranch_vccz .LBB4_121
; %bb.123:                              ;   in Loop: Header=BB4_122 Depth=1
	s_add_i32 s3, s3, 1
	s_add_u32 s0, s0, 4
	s_addc_u32 s1, s1, 0
	s_cmp_eq_u32 s5, s3
	s_mov_b32 s6, s7
	s_cselect_b32 s8, -1, 0
	s_delay_alu instid0(SALU_CYCLE_1)
	s_and_not1_b32 vcc_lo, exec_lo, s8
	s_cbranch_vccnz .LBB4_122
.LBB4_124:
	s_ashr_i32 s7, s6, 31
	s_branch .LBB4_126
.LBB4_125:
	s_mov_b64 s[6:7], 0
.LBB4_126:
	s_delay_alu instid0(SALU_CYCLE_1)
	s_lshl_b64 s[0:1], s[6:7], 2
	v_mov_b32_e32 v0, 0
	s_add_u32 s0, s22, s0
	s_addc_u32 s1, s23, s1
	global_load_b32 v4, v0, s[0:1] offset:-4
.LBB4_127:
	s_or_b32 exec_lo, exec_lo, s26
	s_and_saveexec_b32 s0, s2
	s_cbranch_execz .LBB4_77
.LBB4_128:
	s_cmpk_eq_i32 s4, 0xe7
	s_cselect_b32 s0, -1, 0
	s_waitcnt vmcnt(0)
	v_cndmask_b32_e64 v1, v4, 0, s0
	v_cndmask_b32_e64 v0, v3, 0, s0
	v_mov_b32_e32 v3, 0
	global_store_b96 v3, v[0:2], s[20:21]
	s_nop 0
	s_sendmsg sendmsg(MSG_DEALLOC_VGPRS)
	s_endpgm
	.section	.rodata,"a",@progbits
	.p2align	6, 0x0
	.amdhsa_kernel _ZN9rocsolver6v33100L19stedcx_split_kernelIfEEv15rocblas_erange_iT_S3_iiPS3_lS4_lS4_lPiS4_S3_S3_
		.amdhsa_group_segment_fixed_size 2048
		.amdhsa_private_segment_fixed_size 0
		.amdhsa_kernarg_size 352
		.amdhsa_user_sgpr_count 14
		.amdhsa_user_sgpr_dispatch_ptr 0
		.amdhsa_user_sgpr_queue_ptr 0
		.amdhsa_user_sgpr_kernarg_segment_ptr 1
		.amdhsa_user_sgpr_dispatch_id 0
		.amdhsa_user_sgpr_private_segment_size 0
		.amdhsa_wavefront_size32 1
		.amdhsa_uses_dynamic_stack 0
		.amdhsa_enable_private_segment 0
		.amdhsa_system_sgpr_workgroup_id_x 1
		.amdhsa_system_sgpr_workgroup_id_y 1
		.amdhsa_system_sgpr_workgroup_id_z 0
		.amdhsa_system_sgpr_workgroup_info 0
		.amdhsa_system_vgpr_workitem_id 0
		.amdhsa_next_free_vgpr 22
		.amdhsa_next_free_sgpr 56
		.amdhsa_reserve_vcc 1
		.amdhsa_float_round_mode_32 0
		.amdhsa_float_round_mode_16_64 0
		.amdhsa_float_denorm_mode_32 3
		.amdhsa_float_denorm_mode_16_64 3
		.amdhsa_dx10_clamp 1
		.amdhsa_ieee_mode 1
		.amdhsa_fp16_overflow 0
		.amdhsa_workgroup_processor_mode 1
		.amdhsa_memory_ordered 1
		.amdhsa_forward_progress 0
		.amdhsa_shared_vgpr_count 0
		.amdhsa_exception_fp_ieee_invalid_op 0
		.amdhsa_exception_fp_denorm_src 0
		.amdhsa_exception_fp_ieee_div_zero 0
		.amdhsa_exception_fp_ieee_overflow 0
		.amdhsa_exception_fp_ieee_underflow 0
		.amdhsa_exception_fp_ieee_inexact 0
		.amdhsa_exception_int_div_zero 0
	.end_amdhsa_kernel
	.section	.text._ZN9rocsolver6v33100L19stedcx_split_kernelIfEEv15rocblas_erange_iT_S3_iiPS3_lS4_lS4_lPiS4_S3_S3_,"axG",@progbits,_ZN9rocsolver6v33100L19stedcx_split_kernelIfEEv15rocblas_erange_iT_S3_iiPS3_lS4_lS4_lPiS4_S3_S3_,comdat
.Lfunc_end4:
	.size	_ZN9rocsolver6v33100L19stedcx_split_kernelIfEEv15rocblas_erange_iT_S3_iiPS3_lS4_lS4_lPiS4_S3_S3_, .Lfunc_end4-_ZN9rocsolver6v33100L19stedcx_split_kernelIfEEv15rocblas_erange_iT_S3_iiPS3_lS4_lS4_lPiS4_S3_S3_
                                        ; -- End function
	.section	.AMDGPU.csdata,"",@progbits
; Kernel info:
; codeLenInByte = 6588
; NumSgprs: 58
; NumVgprs: 22
; ScratchSize: 0
; MemoryBound: 0
; FloatMode: 240
; IeeeMode: 1
; LDSByteSize: 2048 bytes/workgroup (compile time only)
; SGPRBlocks: 7
; VGPRBlocks: 2
; NumSGPRsForWavesPerEU: 58
; NumVGPRsForWavesPerEU: 22
; Occupancy: 16
; WaveLimiterHint : 0
; COMPUTE_PGM_RSRC2:SCRATCH_EN: 0
; COMPUTE_PGM_RSRC2:USER_SGPR: 14
; COMPUTE_PGM_RSRC2:TRAP_HANDLER: 0
; COMPUTE_PGM_RSRC2:TGID_X_EN: 1
; COMPUTE_PGM_RSRC2:TGID_Y_EN: 1
; COMPUTE_PGM_RSRC2:TGID_Z_EN: 0
; COMPUTE_PGM_RSRC2:TIDIG_COMP_CNT: 0
	.section	.text._ZN9rocsolver6v33100L20stedcx_divide_kernelIfEEviPT_lS3_lPi,"axG",@progbits,_ZN9rocsolver6v33100L20stedcx_divide_kernelIfEEviPT_lS3_lPi,comdat
	.globl	_ZN9rocsolver6v33100L20stedcx_divide_kernelIfEEviPT_lS3_lPi ; -- Begin function _ZN9rocsolver6v33100L20stedcx_divide_kernelIfEEviPT_lS3_lPi
	.p2align	8
	.type	_ZN9rocsolver6v33100L20stedcx_divide_kernelIfEEviPT_lS3_lPi,@function
_ZN9rocsolver6v33100L20stedcx_divide_kernelIfEEviPT_lS3_lPi: ; @_ZN9rocsolver6v33100L20stedcx_divide_kernelIfEEviPT_lS3_lPi
; %bb.0:
	s_clause 0x1
	s_load_b32 s12, s[0:1], 0x0
	s_load_b64 s[10:11], s[0:1], 0x28
	s_waitcnt lgkmcnt(0)
	s_mul_i32 s2, s12, 5
	s_ashr_i32 s13, s12, 31
	s_add_i32 s2, s2, 2
	s_delay_alu instid0(SALU_CYCLE_1) | instskip(NEXT) | instid1(SALU_CYCLE_1)
	s_mul_i32 s2, s2, s15
	s_ashr_i32 s3, s2, 31
	s_delay_alu instid0(SALU_CYCLE_1) | instskip(SKIP_4) | instid1(SALU_CYCLE_1)
	s_lshl_b64 s[16:17], s[2:3], 2
	s_mov_b32 s2, exec_lo
	s_add_u32 s14, s10, s16
	s_addc_u32 s20, s11, s17
	s_lshl_b64 s[18:19], s[12:13], 2
	s_add_u32 s8, s14, s18
	s_addc_u32 s9, s20, s19
	s_load_b32 s21, s[8:9], 0x4
	s_waitcnt lgkmcnt(0)
	v_cmpx_gt_i32_e64 s21, v0
	s_cbranch_execz .LBB5_19
; %bb.1:
	s_load_b256 s[0:7], s[0:1], 0x8
	s_ashr_i32 s22, s15, 31
	v_mov_b32_e32 v1, 0
	s_waitcnt lgkmcnt(0)
	s_mul_i32 s3, s15, s3
	s_mul_hi_u32 s23, s15, s2
	s_mul_i32 s24, s22, s2
	s_add_i32 s3, s23, s3
	s_mul_i32 s2, s15, s2
	s_add_i32 s3, s3, s24
	s_mul_i32 s23, s15, s7
	s_lshl_b64 s[2:3], s[2:3], 2
	s_mul_hi_u32 s24, s15, s6
	s_add_u32 s7, s0, s2
	s_mul_i32 s25, s22, s6
	s_addc_u32 s22, s1, s3
	s_add_i32 s1, s24, s23
	s_mul_i32 s0, s15, s6
	s_add_i32 s1, s1, s25
	s_mov_b32 s3, 0
	s_lshl_b64 s[0:1], s[0:1], 2
	s_delay_alu instid0(SALU_CYCLE_1)
	s_add_u32 s0, s4, s0
	s_addc_u32 s1, s5, s1
	s_add_u32 s4, s8, s18
	s_addc_u32 s5, s9, s19
	s_add_u32 s6, s0, -4
	s_addc_u32 s15, s1, -1
	s_add_u32 s0, s18, s16
	s_addc_u32 s1, s19, s17
	s_add_u32 s0, s0, s10
	s_addc_u32 s1, s1, s11
	s_add_u32 s18, s0, 4
	s_addc_u32 s19, s1, 0
	s_lshl_b64 s[0:1], s[12:13], 3
	s_mov_b32 s12, 0
	s_add_u32 s0, s0, s16
	s_addc_u32 s1, s1, s17
	s_add_u32 s0, s0, s10
	s_addc_u32 s1, s1, s11
	s_add_u32 s10, s0, 12
	s_addc_u32 s11, s1, 0
	s_branch .LBB5_3
.LBB5_2:                                ;   in Loop: Header=BB5_3 Depth=1
	s_set_inst_prefetch_distance 0x2
	s_or_b32 exec_lo, exec_lo, s1
	v_add_nc_u32_e32 v0, 0x200, v0
	s_delay_alu instid0(VALU_DEP_1) | instskip(SKIP_1) | instid1(SALU_CYCLE_1)
	v_cmp_le_i32_e32 vcc_lo, s21, v0
	s_or_b32 s12, vcc_lo, s12
	s_and_not1_b32 exec_lo, exec_lo, s12
	s_cbranch_execz .LBB5_19
.LBB5_3:                                ; =>This Loop Header: Depth=1
                                        ;     Child Loop BB5_13 Depth 2
                                        ;       Child Loop BB5_14 Depth 3
                                        ;     Child Loop BB5_18 Depth 2
	v_lshlrev_b64 v[2:3], 2, v[0:1]
	v_mov_b32_e32 v10, 0
	s_mov_b32 s0, exec_lo
	s_delay_alu instid0(VALU_DEP_2) | instskip(NEXT) | instid1(VALU_DEP_3)
	v_add_co_u32 v2, vcc_lo, s14, v2
	v_add_co_ci_u32_e32 v3, vcc_lo, s20, v3, vcc_lo
	global_load_b64 v[2:3], v[2:3], off
	s_waitcnt vmcnt(0)
	v_sub_nc_u32_e32 v8, v3, v2
	s_delay_alu instid0(VALU_DEP_1)
	v_cmpx_lt_i32_e32 2, v8
	s_cbranch_execz .LBB5_11
; %bb.4:                                ;   in Loop: Header=BB5_3 Depth=1
	v_mov_b32_e32 v10, 1
	s_mov_b32 s1, exec_lo
	v_cmpx_lt_u32_e32 4, v8
	s_cbranch_execz .LBB5_10
; %bb.5:                                ;   in Loop: Header=BB5_3 Depth=1
	v_mov_b32_e32 v10, 2
	s_mov_b32 s2, exec_lo
	v_cmpx_lt_u32_e32 32, v8
	;; [unrolled: 5-line block ×3, first 2 shown]
; %bb.7:                                ;   in Loop: Header=BB5_3 Depth=1
	v_cmp_gt_u32_e32 vcc_lo, 0x128, v8
	v_cndmask_b32_e64 v3, 7, 5, vcc_lo
	v_cmp_gt_u32_e32 vcc_lo, 0x79b, v8
	s_delay_alu instid0(VALU_DEP_2)
	v_cndmask_b32_e32 v10, 8, v3, vcc_lo
; %bb.8:                                ;   in Loop: Header=BB5_3 Depth=1
	s_or_b32 exec_lo, exec_lo, s13
.LBB5_9:                                ;   in Loop: Header=BB5_3 Depth=1
	s_delay_alu instid0(SALU_CYCLE_1)
	s_or_b32 exec_lo, exec_lo, s2
.LBB5_10:                               ;   in Loop: Header=BB5_3 Depth=1
	s_delay_alu instid0(SALU_CYCLE_1)
	s_or_b32 exec_lo, exec_lo, s1
.LBB5_11:                               ;   in Loop: Header=BB5_3 Depth=1
	s_delay_alu instid0(SALU_CYCLE_1) | instskip(SKIP_1) | instid1(VALU_DEP_1)
	s_or_b32 exec_lo, exec_lo, s0
	v_ashrrev_i32_e32 v3, 31, v2
	v_lshlrev_b64 v[6:7], 2, v[2:3]
	s_delay_alu instid0(VALU_DEP_1) | instskip(NEXT) | instid1(VALU_DEP_2)
	v_add_co_u32 v11, vcc_lo, s8, v6
	v_add_co_ci_u32_e32 v12, vcc_lo, s9, v7, vcc_lo
	s_delay_alu instid0(VALU_DEP_2) | instskip(NEXT) | instid1(VALU_DEP_2)
	v_add_co_u32 v4, vcc_lo, v11, 8
	v_add_co_ci_u32_e32 v5, vcc_lo, 0, v12, vcc_lo
	v_cmp_ne_u32_e32 vcc_lo, 0, v10
	global_store_b32 v[11:12], v8, off offset:8
	s_and_saveexec_b32 s13, vcc_lo
	s_cbranch_execz .LBB5_16
; %bb.12:                               ;   in Loop: Header=BB5_3 Depth=1
	v_add_co_u32 v3, s0, s18, v6
	s_delay_alu instid0(VALU_DEP_1)
	v_add_co_ci_u32_e64 v11, s0, s19, v7, s0
	s_mov_b32 s16, 0
	s_mov_b32 s17, 0
	s_set_inst_prefetch_distance 0x1
	.p2align	6
.LBB5_13:                               ;   Parent Loop BB5_3 Depth=1
                                        ; =>  This Loop Header: Depth=2
                                        ;       Child Loop BB5_14 Depth 3
	s_lshl_b32 s2, 1, s17
	s_delay_alu instid0(SALU_CYCLE_1) | instskip(SKIP_2) | instid1(VALU_DEP_1)
	s_lshl_b64 s[0:1], s[2:3], 2
	s_add_i32 s23, s2, 1
	v_add_co_u32 v8, s0, v3, s0
	v_add_co_ci_u32_e64 v9, s0, s1, v11, s0
	s_lshl_b32 s2, s2, 1
	.p2align	6
.LBB5_14:                               ;   Parent Loop BB5_3 Depth=1
                                        ;     Parent Loop BB5_13 Depth=2
                                        ; =>    This Inner Loop Header: Depth=3
	global_load_b32 v15, v[8:9], off
	s_lshl_b64 s[24:25], s[2:3], 2
	v_add_co_u32 v8, s0, v8, -4
	s_delay_alu instid0(VALU_DEP_1)
	v_add_co_ci_u32_e64 v9, s0, -1, v9, s0
	s_add_i32 s23, s23, -1
	s_add_i32 s2, s2, -2
	s_cmp_lt_i32 s23, 2
	s_waitcnt vmcnt(0)
	v_lshrrev_b32_e32 v12, 31, v15
	s_delay_alu instid0(VALU_DEP_1) | instskip(SKIP_1) | instid1(VALU_DEP_2)
	v_add_nc_u32_e32 v13, v15, v12
	v_add_co_u32 v12, s1, v4, s24
	v_and_b32_e32 v16, -2, v13
	v_ashrrev_i32_e32 v14, 1, v13
	v_add_co_ci_u32_e64 v13, s1, s25, v5, s1
	s_delay_alu instid0(VALU_DEP_3) | instskip(NEXT) | instid1(VALU_DEP_1)
	v_cmp_lt_i32_e64 s1, v16, v15
	v_add_co_ci_u32_e64 v15, s1, 0, v14, s1
	global_store_b64 v[12:13], v[14:15], off offset:-8
	s_cbranch_scc0 .LBB5_14
; %bb.15:                               ;   in Loop: Header=BB5_13 Depth=2
	s_add_i32 s17, s17, 1
	s_delay_alu instid0(SALU_CYCLE_1) | instskip(NEXT) | instid1(VALU_DEP_1)
	v_cmp_eq_u32_e64 s0, s17, v10
	s_or_b32 s16, s0, s16
	s_delay_alu instid0(SALU_CYCLE_1)
	s_and_not1_b32 exec_lo, exec_lo, s16
	s_cbranch_execnz .LBB5_13
.LBB5_16:                               ;   in Loop: Header=BB5_3 Depth=1
	s_set_inst_prefetch_distance 0x2
	s_or_b32 exec_lo, exec_lo, s13
	v_add_co_u32 v8, s0, s4, v6
	s_delay_alu instid0(VALU_DEP_1)
	v_add_co_ci_u32_e64 v9, s0, s5, v7, s0
	global_store_b32 v[8:9], v2, off offset:8
	s_and_saveexec_b32 s1, vcc_lo
	s_cbranch_execz .LBB5_2
; %bb.17:                               ;   in Loop: Header=BB5_3 Depth=1
	v_add_co_u32 v6, vcc_lo, s10, v6
	v_add_co_ci_u32_e32 v7, vcc_lo, s11, v7, vcc_lo
	s_mov_b32 s2, 2
	s_mov_b32 s13, 0
	s_set_inst_prefetch_distance 0x1
	.p2align	6
.LBB5_18:                               ;   Parent Loop BB5_3 Depth=1
                                        ; =>  This Inner Loop Header: Depth=2
	global_load_b32 v3, v[4:5], off
	v_lshrrev_b32_e64 v13, v10, s2
	s_add_i32 s2, s2, 1
	s_waitcnt vmcnt(0)
	v_add_nc_u32_e32 v2, v3, v2
	s_delay_alu instid0(VALU_DEP_1) | instskip(NEXT) | instid1(VALU_DEP_1)
	v_ashrrev_i32_e32 v3, 31, v2
	v_lshlrev_b64 v[8:9], 2, v[2:3]
	s_delay_alu instid0(VALU_DEP_1) | instskip(NEXT) | instid1(VALU_DEP_2)
	v_add_co_u32 v11, vcc_lo, s6, v8
	v_add_co_ci_u32_e32 v12, vcc_lo, s15, v9, vcc_lo
	v_add_co_u32 v8, vcc_lo, s7, v8
	v_add_co_ci_u32_e32 v9, vcc_lo, s22, v9, vcc_lo
	v_add_co_u32 v4, vcc_lo, v4, 4
	global_load_b32 v3, v[11:12], off
	global_load_b64 v[11:12], v[8:9], off offset:-4
	v_add_co_ci_u32_e32 v5, vcc_lo, 0, v5, vcc_lo
	v_cmp_ne_u32_e32 vcc_lo, 0, v13
	global_store_b32 v[6:7], v2, off
	v_add_co_u32 v6, s0, v6, 4
	s_delay_alu instid0(VALU_DEP_1)
	v_add_co_ci_u32_e64 v7, s0, 0, v7, s0
	s_or_b32 s13, vcc_lo, s13
	s_waitcnt vmcnt(0)
	v_sub_f32_e32 v12, v12, v3
	v_sub_f32_e32 v11, v11, v3
	global_store_b64 v[8:9], v[11:12], off offset:-4
	s_and_not1_b32 exec_lo, exec_lo, s13
	s_cbranch_execnz .LBB5_18
	s_branch .LBB5_2
.LBB5_19:
	s_nop 0
	s_sendmsg sendmsg(MSG_DEALLOC_VGPRS)
	s_endpgm
	.section	.rodata,"a",@progbits
	.p2align	6, 0x0
	.amdhsa_kernel _ZN9rocsolver6v33100L20stedcx_divide_kernelIfEEviPT_lS3_lPi
		.amdhsa_group_segment_fixed_size 0
		.amdhsa_private_segment_fixed_size 0
		.amdhsa_kernarg_size 48
		.amdhsa_user_sgpr_count 15
		.amdhsa_user_sgpr_dispatch_ptr 0
		.amdhsa_user_sgpr_queue_ptr 0
		.amdhsa_user_sgpr_kernarg_segment_ptr 1
		.amdhsa_user_sgpr_dispatch_id 0
		.amdhsa_user_sgpr_private_segment_size 0
		.amdhsa_wavefront_size32 1
		.amdhsa_uses_dynamic_stack 0
		.amdhsa_enable_private_segment 0
		.amdhsa_system_sgpr_workgroup_id_x 1
		.amdhsa_system_sgpr_workgroup_id_y 0
		.amdhsa_system_sgpr_workgroup_id_z 0
		.amdhsa_system_sgpr_workgroup_info 0
		.amdhsa_system_vgpr_workitem_id 0
		.amdhsa_next_free_vgpr 17
		.amdhsa_next_free_sgpr 26
		.amdhsa_reserve_vcc 1
		.amdhsa_float_round_mode_32 0
		.amdhsa_float_round_mode_16_64 0
		.amdhsa_float_denorm_mode_32 3
		.amdhsa_float_denorm_mode_16_64 3
		.amdhsa_dx10_clamp 1
		.amdhsa_ieee_mode 1
		.amdhsa_fp16_overflow 0
		.amdhsa_workgroup_processor_mode 1
		.amdhsa_memory_ordered 1
		.amdhsa_forward_progress 0
		.amdhsa_shared_vgpr_count 0
		.amdhsa_exception_fp_ieee_invalid_op 0
		.amdhsa_exception_fp_denorm_src 0
		.amdhsa_exception_fp_ieee_div_zero 0
		.amdhsa_exception_fp_ieee_overflow 0
		.amdhsa_exception_fp_ieee_underflow 0
		.amdhsa_exception_fp_ieee_inexact 0
		.amdhsa_exception_int_div_zero 0
	.end_amdhsa_kernel
	.section	.text._ZN9rocsolver6v33100L20stedcx_divide_kernelIfEEviPT_lS3_lPi,"axG",@progbits,_ZN9rocsolver6v33100L20stedcx_divide_kernelIfEEviPT_lS3_lPi,comdat
.Lfunc_end5:
	.size	_ZN9rocsolver6v33100L20stedcx_divide_kernelIfEEviPT_lS3_lPi, .Lfunc_end5-_ZN9rocsolver6v33100L20stedcx_divide_kernelIfEEviPT_lS3_lPi
                                        ; -- End function
	.section	.AMDGPU.csdata,"",@progbits
; Kernel info:
; codeLenInByte = 1012
; NumSgprs: 28
; NumVgprs: 17
; ScratchSize: 0
; MemoryBound: 0
; FloatMode: 240
; IeeeMode: 1
; LDSByteSize: 0 bytes/workgroup (compile time only)
; SGPRBlocks: 3
; VGPRBlocks: 2
; NumSGPRsForWavesPerEU: 28
; NumVGPRsForWavesPerEU: 17
; Occupancy: 16
; WaveLimiterHint : 1
; COMPUTE_PGM_RSRC2:SCRATCH_EN: 0
; COMPUTE_PGM_RSRC2:USER_SGPR: 15
; COMPUTE_PGM_RSRC2:TRAP_HANDLER: 0
; COMPUTE_PGM_RSRC2:TGID_X_EN: 1
; COMPUTE_PGM_RSRC2:TGID_Y_EN: 0
; COMPUTE_PGM_RSRC2:TGID_Z_EN: 0
; COMPUTE_PGM_RSRC2:TIDIG_COMP_CNT: 0
	.section	.text._ZN9rocsolver6v33100L19stedcx_solve_kernelIfEEviPT_lS3_lS3_iilPiS3_S4_S2_S2_S2_,"axG",@progbits,_ZN9rocsolver6v33100L19stedcx_solve_kernelIfEEviPT_lS3_lS3_iilPiS3_S4_S2_S2_S2_,comdat
	.globl	_ZN9rocsolver6v33100L19stedcx_solve_kernelIfEEviPT_lS3_lS3_iilPiS3_S4_S2_S2_S2_ ; -- Begin function _ZN9rocsolver6v33100L19stedcx_solve_kernelIfEEviPT_lS3_lS3_iilPiS3_S4_S2_S2_S2_
	.p2align	8
	.type	_ZN9rocsolver6v33100L19stedcx_solve_kernelIfEEviPT_lS3_lS3_iilPiS3_S4_S2_S2_S2_,@function
_ZN9rocsolver6v33100L19stedcx_solve_kernelIfEEviPT_lS3_lS3_iilPiS3_S4_S2_S2_S2_: ; @_ZN9rocsolver6v33100L19stedcx_solve_kernelIfEEviPT_lS3_lS3_iilPiS3_S4_S2_S2_S2_
; %bb.0:
	s_clause 0x1
	s_load_b128 s[24:27], s[0:1], 0x28
	s_load_b256 s[4:11], s[0:1], 0x38
	s_mov_b32 s2, s15
	s_mov_b32 s12, s13
	s_waitcnt lgkmcnt(0)
	s_cmp_lg_u64 s[24:25], 0
	s_cbranch_scc0 .LBB6_245
; %bb.1:
	s_mul_i32 s5, s2, s5
	s_mul_hi_u32 s13, s2, s4
	s_ashr_i32 s3, s2, 31
	s_add_i32 s5, s13, s5
	s_mul_i32 s13, s3, s4
	s_mul_i32 s4, s2, s4
	s_add_i32 s5, s5, s13
	s_ashr_i32 s17, s26, 31
	s_lshl_b64 s[4:5], s[4:5], 2
	s_mov_b32 s16, s26
	s_add_u32 s13, s24, s4
	s_addc_u32 s15, s25, s5
	s_lshl_b64 s[4:5], s[16:17], 2
	s_delay_alu instid0(SALU_CYCLE_1)
	s_add_u32 s24, s13, s4
	s_addc_u32 s25, s15, s5
	s_cbranch_execnz .LBB6_3
.LBB6_2:
	s_ashr_i32 s3, s2, 31
                                        ; implicit-def: $sgpr24_sgpr25
.LBB6_3:
	s_load_b32 s4, s[0:1], 0x0
	s_waitcnt lgkmcnt(0)
	s_mul_i32 s5, s4, 5
	s_delay_alu instid0(SALU_CYCLE_1) | instskip(NEXT) | instid1(SALU_CYCLE_1)
	s_add_i32 s5, s5, 2
	s_mul_i32 s16, s5, s2
	s_delay_alu instid0(SALU_CYCLE_1) | instskip(NEXT) | instid1(SALU_CYCLE_1)
	s_ashr_i32 s17, s16, 31
	s_lshl_b64 s[16:17], s[16:17], 2
	s_delay_alu instid0(SALU_CYCLE_1) | instskip(SKIP_2) | instid1(SALU_CYCLE_1)
	s_add_u32 s26, s10, s16
	s_addc_u32 s33, s11, s17
	s_ashr_i32 s5, s4, 31
	s_lshl_b64 s[34:35], s[4:5], 2
	s_delay_alu instid0(SALU_CYCLE_1)
	s_add_u32 s36, s26, s34
	s_addc_u32 s37, s33, s35
	s_load_b32 s60, s[36:37], 0x4
	s_waitcnt lgkmcnt(0)
	s_cmp_ge_i32 s14, s60
	s_cbranch_scc1 .LBB6_244
; %bb.4:
	s_clause 0x2
	s_load_b256 s[16:23], s[0:1], 0x8
	s_load_b32 s15, s[0:1], 0x74
	s_load_b128 s[28:31], s[0:1], 0x58
	s_mul_i32 s4, s2, s4
	v_dual_mov_b32 v2, 0 :: v_dual_lshlrev_b32 v1, 2, v0
                                        ; implicit-def: $vgpr7_vgpr8
                                        ; implicit-def: $vgpr9_vgpr10
                                        ; implicit-def: $vgpr11_vgpr12
                                        ; implicit-def: $vgpr3_vgpr4
                                        ; implicit-def: $vgpr42
                                        ; implicit-def: $vgpr5_vgpr6
                                        ; implicit-def: $vgpr45
                                        ; implicit-def: $vgpr13_vgpr14
                                        ; implicit-def: $vgpr15_vgpr16
	s_waitcnt lgkmcnt(0)
	s_mul_i32 s1, s2, s19
	s_mul_hi_u32 s5, s2, s18
	s_mul_i32 s10, s3, s18
	s_add_i32 s1, s5, s1
	s_mul_i32 s0, s2, s18
	s_add_i32 s1, s1, s10
	s_mul_i32 s5, s2, s23
	s_lshl_b64 s[0:1], s[0:1], 2
	s_mul_hi_u32 s10, s2, s22
	s_add_u32 s31, s16, s0
	s_mul_i32 s11, s3, s22
	s_addc_u32 s61, s17, s1
	s_add_i32 s1, s10, s5
	s_mul_i32 s0, s2, s22
	s_add_i32 s1, s1, s11
	v_mul_f32_e64 v39, s28, s28
	s_lshl_b64 s[10:11], s[0:1], 2
	v_add_co_u32 v37, s1, s24, v1
	s_add_u32 s62, s20, s10
	s_addc_u32 s63, s21, s11
	s_lshl_b64 s[2:3], s[2:3], 2
	v_add_co_ci_u32_e64 v38, null, s25, 0, s1
	s_add_u32 s6, s6, s2
	s_addc_u32 s7, s7, s3
	s_lshl_b32 s2, s4, 1
	s_mov_b32 s10, s27
	s_ashr_i32 s3, s2, 31
	v_cmp_eq_u32_e64 s0, 0, v0
	s_lshl_b64 s[2:3], s[2:3], 2
	s_mov_b32 s16, 0x667f3bcd
	s_add_u32 s64, s8, s2
	s_addc_u32 s65, s9, s3
	s_ashr_i32 s13, s12, 31
	s_mov_b32 s5, 0
	s_lshl_b64 s[2:3], s[12:13], 2
	s_and_b32 s13, 0xffff, s15
	s_add_u32 s1, s36, s2
	s_addc_u32 s2, s37, s3
	s_ashr_i32 s11, s27, 31
	s_add_u32 s66, s1, 8
	s_addc_u32 s67, s2, 0
	s_add_u32 s68, s66, s34
	s_addc_u32 s69, s67, s35
	;; [unrolled: 2-line block ×3, first 2 shown]
	s_lshl_b32 s72, s13, 2
	s_add_u32 s73, s64, -8
	s_addc_u32 s74, s65, -1
	s_add_u32 s75, s62, -4
	s_addc_u32 s76, s63, -1
	s_lshl_b64 s[8:9], s[10:11], 2
	v_add_co_u32 v40, s1, s62, v1
	s_sub_u32 s77, 0, s8
	s_subb_u32 s78, 0, s9
	v_add_co_ci_u32_e64 v41, null, s63, 0, s1
	s_add_u32 s79, s31, -4
	s_addc_u32 s80, s61, -1
	s_add_u32 s81, s64, -4
	s_mov_b32 s17, 0x3ff6a09e
	s_addc_u32 s82, s65, -1
	s_branch .LBB6_7
.LBB6_5:                                ;   in Loop: Header=BB6_7 Depth=1
	s_set_inst_prefetch_distance 0x2
	s_or_b32 exec_lo, exec_lo, s2
	v_dual_mov_b32 v15, v23 :: v_dual_mov_b32 v16, v24
	v_dual_mov_b32 v13, v21 :: v_dual_mov_b32 v14, v22
	v_mov_b32_e32 v45, v18
	s_waitcnt_vscnt null, 0x0
	s_barrier
	buffer_gl0_inv
.LBB6_6:                                ;   in Loop: Header=BB6_7 Depth=1
	s_add_i32 s14, s14, 8
	s_delay_alu instid0(SALU_CYCLE_1)
	s_cmp_ge_i32 s14, s60
	s_cbranch_scc1 .LBB6_244
.LBB6_7:                                ; =>This Loop Header: Depth=1
                                        ;     Child Loop BB6_24 Depth 2
                                        ;     Child Loop BB6_37 Depth 2
	;; [unrolled: 1-line block ×3, first 2 shown]
                                        ;       Child Loop BB6_47 Depth 3
                                        ;       Child Loop BB6_55 Depth 3
                                        ;       Child Loop BB6_62 Depth 3
                                        ;         Child Loop BB6_70 Depth 4
                                        ;         Child Loop BB6_89 Depth 4
	;; [unrolled: 1-line block ×3, first 2 shown]
                                        ;           Child Loop BB6_136 Depth 5
                                        ;       Child Loop BB6_142 Depth 3
                                        ;         Child Loop BB6_151 Depth 4
                                        ;         Child Loop BB6_170 Depth 4
	;; [unrolled: 1-line block ×3, first 2 shown]
                                        ;           Child Loop BB6_217 Depth 5
                                        ;       Child Loop BB6_225 Depth 3
                                        ;       Child Loop BB6_232 Depth 3
                                        ;     Child Loop BB6_241 Depth 2
	s_ashr_i32 s15, s14, 31
	s_delay_alu instid0(SALU_CYCLE_1) | instskip(NEXT) | instid1(SALU_CYCLE_1)
	s_lshl_b64 s[2:3], s[14:15], 2
	s_add_u32 s2, s26, s2
	s_addc_u32 s3, s33, s3
	global_load_b64 v[17:18], v2, s[2:3]
	s_waitcnt vmcnt(0)
	v_readfirstlane_b32 s2, v17
	v_readfirstlane_b32 s1, v18
	s_delay_alu instid0(VALU_DEP_1)
	s_sub_i32 s15, s1, s2
	s_mov_b32 s1, s5
	s_cmp_lt_i32 s15, 3
	s_cbranch_scc1 .LBB6_12
; %bb.8:                                ;   in Loop: Header=BB6_7 Depth=1
	s_cmp_lt_u32 s15, 5
	s_mov_b32 s1, 1
	s_cbranch_scc1 .LBB6_12
; %bb.9:                                ;   in Loop: Header=BB6_7 Depth=1
	s_cmp_lt_u32 s15, 33
	s_mov_b32 s1, 2
	s_cbranch_scc1 .LBB6_12
; %bb.10:                               ;   in Loop: Header=BB6_7 Depth=1
	s_cmpk_lt_u32 s15, 0xe9
	s_mov_b32 s1, 4
	s_cbranch_scc1 .LBB6_12
; %bb.11:                               ;   in Loop: Header=BB6_7 Depth=1
	s_cmpk_lt_u32 s15, 0x128
	s_cselect_b32 s1, 5, 7
	s_cmpk_lt_u32 s15, 0x79b
	s_cselect_b32 s1, s1, 8
.LBB6_12:                               ;   in Loop: Header=BB6_7 Depth=1
	s_delay_alu instid0(SALU_CYCLE_1) | instskip(NEXT) | instid1(SALU_CYCLE_1)
	s_lshl_b32 s1, 1, s1
	s_cmp_ge_i32 s12, s1
	s_cbranch_scc1 .LBB6_6
; %bb.13:                               ;   in Loop: Header=BB6_7 Depth=1
	s_ashr_i32 s3, s2, 31
	s_delay_alu instid0(SALU_CYCLE_1) | instskip(NEXT) | instid1(SALU_CYCLE_1)
	s_lshl_b64 s[2:3], s[2:3], 2
	s_add_u32 s18, s66, s2
	s_addc_u32 s19, s67, s3
	s_add_u32 s2, s68, s2
	s_addc_u32 s3, s69, s3
	s_clause 0x1
	global_load_b32 v1, v2, s[18:19]
	global_load_b32 v17, v2, s[2:3]
	s_waitcnt vmcnt(1)
	v_readfirstlane_b32 s22, v1
	s_waitcnt vmcnt(0)
	v_readfirstlane_b32 s20, v17
	s_and_saveexec_b32 s1, s0
	s_cbranch_execz .LBB6_15
; %bb.14:                               ;   in Loop: Header=BB6_7 Depth=1
	ds_store_2addr_b32 v2, v2, v2 offset0:3 offset1:7
.LBB6_15:                               ;   in Loop: Header=BB6_7 Depth=1
	s_or_b32 exec_lo, exec_lo, s1
	s_waitcnt lgkmcnt(0)
	s_barrier
	buffer_gl0_inv
	ds_load_2addr_b32 v[17:18], v2 offset0:3 offset1:7
	s_mul_i32 s15, s15, 30
	s_ashr_i32 s21, s20, 31
	s_add_i32 s18, s22, -1
	s_waitcnt lgkmcnt(0)
	v_cmp_gt_i32_e32 vcc_lo, s22, v17
	v_cmp_gt_i32_e64 s1, s15, v18
	v_readfirstlane_b32 s50, v17
	s_delay_alu instid0(VALU_DEP_2) | instskip(NEXT) | instid1(SALU_CYCLE_1)
	s_and_b32 s1, vcc_lo, s1
	s_and_not1_b32 vcc_lo, exec_lo, s1
	s_cbranch_vccnz .LBB6_237
; %bb.16:                               ;   in Loop: Header=BB6_7 Depth=1
	s_lshl_b64 s[34:35], s[20:21], 2
	s_mul_i32 s2, s20, s27
	s_add_u32 s36, s31, s34
	s_addc_u32 s37, s61, s35
	s_add_u32 s83, s62, s34
	s_addc_u32 s84, s63, s35
	s_ashr_i32 s3, s2, 31
	v_cmp_gt_i32_e64 s1, s22, v0
	s_lshl_b64 s[2:3], s[2:3], 2
	s_delay_alu instid0(SALU_CYCLE_1)
	s_add_u32 s4, s34, s2
	s_addc_u32 s19, s35, s3
	s_add_u32 s85, s4, s24
	s_addc_u32 s86, s19, s25
	s_lshl_b32 s2, s20, 1
	v_add_co_u32 v43, vcc_lo, v37, s4
	s_ashr_i32 s3, s2, 31
	v_add_co_ci_u32_e32 v44, vcc_lo, s19, v38, vcc_lo
	s_lshl_b64 s[2:3], s[2:3], 2
	s_delay_alu instid0(SALU_CYCLE_1)
	s_add_u32 s38, s64, s2
	s_addc_u32 s39, s65, s3
	s_ashr_i32 s23, s22, 31
	s_add_u32 s87, s83, -4
	s_addc_u32 s88, s84, -1
	s_add_u32 s40, s38, -4
	s_addc_u32 s41, s39, -1
	s_add_u32 s89, s62, s34
	s_addc_u32 s90, s63, s35
	s_add_u32 s91, s70, s34
	s_addc_u32 s92, s71, s35
	;; [unrolled: 2-line block ×3, first 2 shown]
	s_lshl_b64 s[42:43], s[22:23], 2
	s_delay_alu instid0(SALU_CYCLE_1)
	s_add_u32 s48, s42, s2
	s_addc_u32 s49, s43, s3
	s_add_u32 s44, s73, s48
	s_addc_u32 s45, s74, s49
	s_add_u32 s46, s75, s34
	s_addc_u32 s47, s76, s35
	s_add_u32 s23, s42, -4
	s_addc_u32 s95, s43, -1
	s_add_u32 s96, s64, s2
	s_addc_u32 s97, s65, s3
	s_add_u32 s98, s79, s34
	s_addc_u32 s99, s80, s35
	;; [unrolled: 2-line block ×3, first 2 shown]
	s_and_saveexec_b32 s4, s0
	s_cbranch_execz .LBB6_40
.LBB6_17:                               ;   in Loop: Header=BB6_7 Depth=1
	s_cmp_lt_i32 s50, 1
	s_cbranch_scc1 .LBB6_19
; %bb.18:                               ;   in Loop: Header=BB6_7 Depth=1
	s_mov_b32 s51, s5
	s_delay_alu instid0(SALU_CYCLE_1) | instskip(NEXT) | instid1(SALU_CYCLE_1)
	s_lshl_b64 s[2:3], s[50:51], 2
	s_add_u32 s2, s87, s2
	s_addc_u32 s3, s88, s3
	global_store_b32 v2, v2, s[2:3]
.LBB6_19:                               ;   in Loop: Header=BB6_7 Depth=1
	s_mov_b32 s2, -1
	s_mov_b32 s56, 0
	s_cmp_lt_i32 s50, s18
	s_mov_b32 s100, 0
	s_cbranch_scc1 .LBB6_21
; %bb.20:                               ;   in Loop: Header=BB6_7 Depth=1
	s_ashr_i32 s51, s50, 31
	s_mov_b32 s2, 0
	s_mov_b32 s100, -1
.LBB6_21:                               ;   in Loop: Header=BB6_7 Depth=1
	s_and_not1_b32 vcc_lo, exec_lo, s2
	s_cbranch_vccnz .LBB6_26
; %bb.22:                               ;   in Loop: Header=BB6_7 Depth=1
	s_ashr_i32 s51, s50, 31
	s_delay_alu instid0(SALU_CYCLE_1)
	s_lshl_b64 s[2:3], s[50:51], 2
	s_mov_b64 s[56:57], s[50:51]
	s_add_u32 s58, s89, s2
	s_addc_u32 s59, s90, s3
	s_add_u32 s54, s91, s2
	s_addc_u32 s55, s92, s3
	s_branch .LBB6_24
.LBB6_23:                               ;   in Loop: Header=BB6_24 Depth=2
	s_and_not1_b32 vcc_lo, exec_lo, s101
	s_cbranch_vccz .LBB6_27
.LBB6_24:                               ;   Parent Loop BB6_7 Depth=1
                                        ; =>  This Inner Loop Header: Depth=2
	s_clause 0x1
	global_load_b64 v[7:8], v2, s[54:55] offset:-4
	global_load_b32 v1, v2, s[58:59]
	s_mov_b64 s[52:53], s[58:59]
	s_mov_b32 s19, -1
	s_mov_b32 s101, -1
	s_waitcnt vmcnt(1)
	v_mul_f32_e64 v9, 0x4f800000, |v7|
	v_cmp_gt_f32_e64 vcc_lo, 0xf800000, |v7|
	v_mul_f32_e64 v10, 0x4f800000, |v8|
	v_cmp_gt_f32_e64 s2, 0xf800000, |v8|
	s_delay_alu instid0(VALU_DEP_3) | instskip(NEXT) | instid1(VALU_DEP_2)
	v_cndmask_b32_e64 v7, |v7|, v9, vcc_lo
	v_cndmask_b32_e64 v8, |v8|, v10, s2
	s_delay_alu instid0(VALU_DEP_2) | instskip(NEXT) | instid1(VALU_DEP_1)
	v_sqrt_f32_e32 v9, v7
	v_sqrt_f32_e32 v10, v8
	s_waitcnt_depctr 0xfff
	v_add_nc_u32_e32 v11, -1, v9
	v_add_nc_u32_e32 v17, 1, v9
	v_add_nc_u32_e32 v12, -1, v10
	v_add_nc_u32_e32 v18, 1, v10
	s_delay_alu instid0(VALU_DEP_4) | instskip(NEXT) | instid1(VALU_DEP_4)
	v_fma_f32 v19, -v11, v9, v7
	v_fma_f32 v21, -v17, v9, v7
	s_delay_alu instid0(VALU_DEP_4) | instskip(NEXT) | instid1(VALU_DEP_4)
	v_fma_f32 v20, -v12, v10, v8
	v_fma_f32 v22, -v18, v10, v8
	s_delay_alu instid0(VALU_DEP_4) | instskip(NEXT) | instid1(VALU_DEP_1)
	v_cmp_ge_f32_e64 s3, 0, v19
	v_cndmask_b32_e64 v9, v9, v11, s3
	s_delay_alu instid0(VALU_DEP_4) | instskip(NEXT) | instid1(VALU_DEP_1)
	v_cmp_ge_f32_e64 s3, 0, v20
	v_cndmask_b32_e64 v10, v10, v12, s3
	v_cmp_lt_f32_e64 s3, 0, v21
	s_delay_alu instid0(VALU_DEP_1) | instskip(SKIP_1) | instid1(VALU_DEP_2)
	v_cndmask_b32_e64 v9, v9, v17, s3
	v_cmp_lt_f32_e64 s3, 0, v22
	v_mul_f32_e32 v11, 0x37800000, v9
	s_delay_alu instid0(VALU_DEP_1) | instskip(NEXT) | instid1(VALU_DEP_3)
	v_cndmask_b32_e32 v9, v9, v11, vcc_lo
	v_cndmask_b32_e64 v10, v10, v18, s3
	v_cmp_class_f32_e64 vcc_lo, v7, 0x260
	s_delay_alu instid0(VALU_DEP_2) | instskip(SKIP_1) | instid1(VALU_DEP_2)
	v_dual_mul_f32 v12, 0x37800000, v10 :: v_dual_cndmask_b32 v7, v9, v7
	v_cmp_class_f32_e64 vcc_lo, v8, 0x260
	v_cndmask_b32_e64 v10, v10, v12, s2
	s_mov_b64 s[2:3], s[56:57]
                                        ; implicit-def: $sgpr56_sgpr57
	s_delay_alu instid0(VALU_DEP_1) | instskip(NEXT) | instid1(VALU_DEP_1)
	v_cndmask_b32_e32 v8, v10, v8, vcc_lo
	v_mul_f32_e32 v7, v7, v8
	s_delay_alu instid0(VALU_DEP_1) | instskip(SKIP_1) | instid1(VALU_DEP_1)
	v_mul_f32_e32 v7, s28, v7
	s_waitcnt vmcnt(0)
	v_cmp_nle_f32_e64 s58, |v1|, v7
	s_delay_alu instid0(VALU_DEP_1)
	s_and_b32 vcc_lo, exec_lo, s58
                                        ; implicit-def: $sgpr58_sgpr59
	s_cbranch_vccz .LBB6_23
; %bb.25:                               ;   in Loop: Header=BB6_24 Depth=2
	s_add_u32 s56, s2, 1
	s_addc_u32 s57, s3, 0
	s_add_u32 s58, s52, 4
	s_addc_u32 s59, s53, 0
	;; [unrolled: 2-line block ×3, first 2 shown]
	s_cmp_ge_i32 s56, s18
	s_mov_b32 s19, 0
	s_cselect_b32 s101, -1, 0
	s_branch .LBB6_23
.LBB6_26:                               ;   in Loop: Header=BB6_7 Depth=1
	s_mov_b32 s2, s50
	s_mov_b64 s[54:55], s[50:51]
	s_and_b32 vcc_lo, exec_lo, s100
	s_cbranch_vccnz .LBB6_30
	s_branch .LBB6_31
.LBB6_27:                               ;   in Loop: Header=BB6_7 Depth=1
	s_xor_b32 s19, s19, -1
	s_mov_b32 s56, -1
	s_and_b32 vcc_lo, exec_lo, s19
                                        ; implicit-def: $sgpr54_sgpr55
	s_cbranch_vccz .LBB6_29
; %bb.28:                               ;   in Loop: Header=BB6_7 Depth=1
	s_ashr_i32 s19, s18, 31
	s_mov_b32 s100, -1
	s_mov_b32 s56, 0
	s_mov_b64 s[54:55], s[18:19]
.LBB6_29:                               ;   in Loop: Header=BB6_7 Depth=1
	v_dual_mov_b32 v8, s3 :: v_dual_mov_b32 v7, s2
	v_dual_mov_b32 v9, s52 :: v_dual_mov_b32 v10, s53
	v_dual_mov_b32 v11, s50 :: v_dual_mov_b32 v12, s51
	s_mov_b32 s2, s18
	s_and_b32 vcc_lo, exec_lo, s100
	s_cbranch_vccz .LBB6_31
.LBB6_30:                               ;   in Loop: Header=BB6_7 Depth=1
	v_mov_b32_e32 v1, s2
	ds_store_b32 v2, v1 offset:4
.LBB6_31:                               ;   in Loop: Header=BB6_7 Depth=1
	v_dual_mov_b32 v17, s50 :: v_dual_mov_b32 v18, s51
	v_dual_mov_b32 v19, s54 :: v_dual_mov_b32 v20, s55
	v_mov_b32_e32 v1, s2
	s_and_not1_b32 vcc_lo, exec_lo, s56
	s_cbranch_vccnz .LBB6_33
; %bb.32:                               ;   in Loop: Header=BB6_7 Depth=1
	v_dual_mov_b32 v18, v12 :: v_dual_mov_b32 v17, v11
	v_dual_mov_b32 v20, v8 :: v_dual_mov_b32 v19, v7
	v_mov_b32_e32 v1, v7
	ds_store_b32 v2, v7 offset:4
	global_store_b32 v[9:10], v2, off
.LBB6_33:                               ;   in Loop: Header=BB6_7 Depth=1
	s_delay_alu instid0(VALU_DEP_2) | instskip(SKIP_3) | instid1(VALU_DEP_3)
	v_lshlrev_b64 v[21:22], 2, v[19:20]
	v_lshlrev_b64 v[19:20], 2, v[17:18]
	v_mov_b32_e32 v23, s50
	s_mov_b32 s2, exec_lo
	v_add_co_u32 v17, vcc_lo, s36, v21
	s_delay_alu instid0(VALU_DEP_4) | instskip(NEXT) | instid1(VALU_DEP_4)
	v_add_co_ci_u32_e32 v18, vcc_lo, s37, v22, vcc_lo
	v_add_co_u32 v21, vcc_lo, s36, v19
	v_add_co_ci_u32_e32 v22, vcc_lo, s37, v20, vcc_lo
	s_clause 0x1
	global_load_b32 v17, v[17:18], off
	global_load_b32 v18, v[21:22], off
	v_dual_mov_b32 v21, s50 :: v_dual_add_nc_u32 v22, 1, v1
	ds_store_2addr_b32 v2, v21, v1 offset1:5
	ds_store_b32 v2, v1 offset:32
	ds_store_2addr_b32 v2, v22, v23 offset0:3 offset1:4
	s_waitcnt vmcnt(0)
	v_cmpx_lt_f32_e64 |v17|, |v18|
	s_cbranch_execz .LBB6_35
; %bb.34:                               ;   in Loop: Header=BB6_7 Depth=1
	v_mov_b32_e32 v18, s50
	ds_store_2addr_b32 v2, v1, v18 offset1:5
.LBB6_35:                               ;   in Loop: Header=BB6_7 Depth=1
	s_or_b32 exec_lo, exec_lo, s2
	v_and_b32_e32 v21, 0x7fffffff, v17
	s_mov_b32 s3, exec_lo
	v_cmpx_lt_i32_e64 s50, v1
	s_cbranch_execz .LBB6_39
; %bb.36:                               ;   in Loop: Header=BB6_7 Depth=1
	v_add_co_u32 v17, vcc_lo, s93, v19
	v_add_co_ci_u32_e32 v18, vcc_lo, s94, v20, vcc_lo
	v_add_co_u32 v19, vcc_lo, s89, v19
	v_add_co_ci_u32_e32 v20, vcc_lo, s90, v20, vcc_lo
	s_mov_b32 s19, 0
	.p2align	6
.LBB6_37:                               ;   Parent Loop BB6_7 Depth=1
                                        ; =>  This Inner Loop Header: Depth=2
	global_load_b32 v22, v[17:18], off
	global_load_b32 v23, v[19:20], off
	v_add_co_u32 v17, vcc_lo, v17, 4
	s_add_i32 s50, s50, 1
	v_add_co_ci_u32_e32 v18, vcc_lo, 0, v18, vcc_lo
	v_add_co_u32 v19, vcc_lo, v19, 4
	v_cmp_ge_i32_e64 s2, s50, v1
	v_add_co_ci_u32_e32 v20, vcc_lo, 0, v20, vcc_lo
	s_delay_alu instid0(VALU_DEP_2)
	s_or_b32 s19, s2, s19
	s_waitcnt vmcnt(0)
	v_max3_f32 v21, v21, |v22|, |v23|
	s_and_not1_b32 exec_lo, exec_lo, s19
	s_cbranch_execnz .LBB6_37
; %bb.38:                               ;   in Loop: Header=BB6_7 Depth=1
	s_or_b32 exec_lo, exec_lo, s19
.LBB6_39:                               ;   in Loop: Header=BB6_7 Depth=1
	s_delay_alu instid0(SALU_CYCLE_1)
	s_or_b32 exec_lo, exec_lo, s3
	ds_store_b32 v2, v21 offset:24
.LBB6_40:                               ;   Parent Loop BB6_7 Depth=1
                                        ; =>  This Loop Header: Depth=2
                                        ;       Child Loop BB6_47 Depth 3
                                        ;       Child Loop BB6_55 Depth 3
	;; [unrolled: 1-line block ×3, first 2 shown]
                                        ;         Child Loop BB6_70 Depth 4
                                        ;         Child Loop BB6_89 Depth 4
	;; [unrolled: 1-line block ×3, first 2 shown]
                                        ;           Child Loop BB6_136 Depth 5
                                        ;       Child Loop BB6_142 Depth 3
                                        ;         Child Loop BB6_151 Depth 4
                                        ;         Child Loop BB6_170 Depth 4
	;; [unrolled: 1-line block ×3, first 2 shown]
                                        ;           Child Loop BB6_217 Depth 5
                                        ;       Child Loop BB6_225 Depth 3
                                        ;       Child Loop BB6_232 Depth 3
	s_or_b32 exec_lo, exec_lo, s4
	s_waitcnt lgkmcnt(0)
	s_waitcnt_vscnt null, 0x0
	s_barrier
	buffer_gl0_inv
	ds_load_2addr_b32 v[17:18], v2 offset0:5 offset1:6
	ds_load_b32 v1, v2
	s_waitcnt lgkmcnt(1)
	v_cmp_eq_f32_e64 s2, 0, v18
	s_waitcnt lgkmcnt(0)
	v_cmp_eq_u32_e32 vcc_lo, v17, v1
	s_delay_alu instid0(VALU_DEP_2) | instskip(NEXT) | instid1(SALU_CYCLE_1)
	s_or_b32 s2, vcc_lo, s2
	s_and_b32 vcc_lo, exec_lo, s2
	s_cbranch_vccnz .LBB6_138
; %bb.41:                               ;   in Loop: Header=BB6_40 Depth=2
	v_cmp_nlt_f32_e32 vcc_lo, s30, v18
	s_mov_b32 s2, -1
	s_cbranch_vccz .LBB6_50
; %bb.42:                               ;   in Loop: Header=BB6_40 Depth=2
	v_cmp_ngt_f32_e32 vcc_lo, s29, v18
	s_cbranch_vccnz .LBB6_49
; %bb.43:                               ;   in Loop: Header=BB6_40 Depth=2
	v_div_scale_f32 v1, null, s29, s29, v18
	v_div_scale_f32 v21, vcc_lo, v18, s29, v18
	s_delay_alu instid0(VALU_DEP_2) | instskip(SKIP_2) | instid1(VALU_DEP_1)
	v_rcp_f32_e32 v17, v1
	s_waitcnt_depctr 0xfff
	v_fma_f32 v19, -v1, v17, 1.0
	v_fmac_f32_e32 v17, v19, v17
	ds_load_2addr_b32 v[19:20], v2 offset0:4 offset1:8
	v_mul_f32_e32 v22, v21, v17
	s_delay_alu instid0(VALU_DEP_1) | instskip(NEXT) | instid1(VALU_DEP_1)
	v_fma_f32 v23, -v1, v22, v21
	v_fmac_f32_e32 v22, v23, v17
	s_delay_alu instid0(VALU_DEP_1) | instskip(NEXT) | instid1(VALU_DEP_1)
	v_fma_f32 v1, -v1, v22, v21
	v_div_fmas_f32 v1, v1, v17, v22
	s_delay_alu instid0(VALU_DEP_1)
	v_div_fixup_f32 v1, v1, s29, v18
	s_and_saveexec_b32 s2, s0
	s_cbranch_execz .LBB6_45
; %bb.44:                               ;   in Loop: Header=BB6_40 Depth=2
	s_waitcnt lgkmcnt(0)
	v_ashrrev_i32_e32 v22, 31, v20
	v_mov_b32_e32 v21, v20
	s_delay_alu instid0(VALU_DEP_1) | instskip(NEXT) | instid1(VALU_DEP_1)
	v_lshlrev_b64 v[21:22], 2, v[21:22]
	v_add_co_u32 v21, vcc_lo, s36, v21
	s_delay_alu instid0(VALU_DEP_2)
	v_add_co_ci_u32_e32 v22, vcc_lo, s37, v22, vcc_lo
	global_load_b32 v17, v[21:22], off
	s_waitcnt vmcnt(0)
	v_mul_f32_e32 v17, v1, v17
	global_store_b32 v[21:22], v17, off
.LBB6_45:                               ;   in Loop: Header=BB6_40 Depth=2
	s_or_b32 exec_lo, exec_lo, s2
	s_waitcnt lgkmcnt(0)
	v_add_nc_u32_e32 v21, v19, v0
	s_mov_b32 s3, exec_lo
	s_delay_alu instid0(VALU_DEP_1)
	v_cmpx_lt_i32_e64 v21, v20
	s_cbranch_execz .LBB6_48
; %bb.46:                               ;   in Loop: Header=BB6_40 Depth=2
	v_ashrrev_i32_e32 v22, 31, v21
	s_mov_b32 s4, 0
	s_delay_alu instid0(VALU_DEP_1) | instskip(NEXT) | instid1(VALU_DEP_1)
	v_lshlrev_b64 v[22:23], 2, v[21:22]
	v_add_co_u32 v17, vcc_lo, s34, v22
	s_delay_alu instid0(VALU_DEP_2)
	v_add_co_ci_u32_e32 v19, vcc_lo, s35, v23, vcc_lo
	.p2align	6
.LBB6_47:                               ;   Parent Loop BB6_7 Depth=1
                                        ;     Parent Loop BB6_40 Depth=2
                                        ; =>    This Inner Loop Header: Depth=3
	s_delay_alu instid0(VALU_DEP_2) | instskip(NEXT) | instid1(VALU_DEP_2)
	v_add_co_u32 v22, vcc_lo, s31, v17
	v_add_co_ci_u32_e32 v23, vcc_lo, s61, v19, vcc_lo
	v_add_co_u32 v24, vcc_lo, s62, v17
	global_load_b32 v25, v[22:23], off
	s_waitcnt vmcnt(0)
	v_mul_f32_e32 v26, v1, v25
	v_add_co_ci_u32_e32 v25, vcc_lo, s63, v19, vcc_lo
	v_add_co_u32 v17, vcc_lo, v17, s72
	global_store_b32 v[22:23], v26, off
	global_load_b32 v22, v[24:25], off
	v_add_nc_u32_e32 v21, s13, v21
	v_add_co_ci_u32_e32 v19, vcc_lo, 0, v19, vcc_lo
	s_waitcnt vmcnt(0)
	v_mul_f32_e32 v22, v1, v22
	s_delay_alu instid0(VALU_DEP_3) | instskip(SKIP_2) | instid1(SALU_CYCLE_1)
	v_cmp_ge_i32_e64 s2, v21, v20
	global_store_b32 v[24:25], v22, off
	s_or_b32 s4, s2, s4
	s_and_not1_b32 exec_lo, exec_lo, s4
	s_cbranch_execnz .LBB6_47
.LBB6_48:                               ;   in Loop: Header=BB6_40 Depth=2
	s_or_b32 exec_lo, exec_lo, s3
.LBB6_49:                               ;   in Loop: Header=BB6_40 Depth=2
	s_mov_b32 s2, 0
.LBB6_50:                               ;   in Loop: Header=BB6_40 Depth=2
	s_delay_alu instid0(SALU_CYCLE_1)
	s_and_not1_b32 vcc_lo, exec_lo, s2
	s_cbranch_vccnz .LBB6_57
; %bb.51:                               ;   in Loop: Header=BB6_40 Depth=2
	v_div_scale_f32 v1, null, s30, s30, v18
	v_div_scale_f32 v21, vcc_lo, v18, s30, v18
	s_delay_alu instid0(VALU_DEP_2) | instskip(SKIP_2) | instid1(VALU_DEP_1)
	v_rcp_f32_e32 v17, v1
	s_waitcnt_depctr 0xfff
	v_fma_f32 v19, -v1, v17, 1.0
	v_fmac_f32_e32 v17, v19, v17
	ds_load_2addr_b32 v[19:20], v2 offset0:4 offset1:8
	v_mul_f32_e32 v22, v21, v17
	s_delay_alu instid0(VALU_DEP_1) | instskip(NEXT) | instid1(VALU_DEP_1)
	v_fma_f32 v23, -v1, v22, v21
	v_fmac_f32_e32 v22, v23, v17
	s_delay_alu instid0(VALU_DEP_1) | instskip(NEXT) | instid1(VALU_DEP_1)
	v_fma_f32 v1, -v1, v22, v21
	v_div_fmas_f32 v1, v1, v17, v22
	s_delay_alu instid0(VALU_DEP_1)
	v_div_fixup_f32 v1, v1, s30, v18
	s_and_saveexec_b32 s2, s0
	s_cbranch_execz .LBB6_53
; %bb.52:                               ;   in Loop: Header=BB6_40 Depth=2
	s_waitcnt lgkmcnt(0)
	v_ashrrev_i32_e32 v18, 31, v20
	v_mov_b32_e32 v17, v20
	s_delay_alu instid0(VALU_DEP_1) | instskip(NEXT) | instid1(VALU_DEP_1)
	v_lshlrev_b64 v[17:18], 2, v[17:18]
	v_add_co_u32 v17, vcc_lo, s36, v17
	s_delay_alu instid0(VALU_DEP_2)
	v_add_co_ci_u32_e32 v18, vcc_lo, s37, v18, vcc_lo
	global_load_b32 v21, v[17:18], off
	s_waitcnt vmcnt(0)
	v_mul_f32_e32 v21, v1, v21
	global_store_b32 v[17:18], v21, off
.LBB6_53:                               ;   in Loop: Header=BB6_40 Depth=2
	s_or_b32 exec_lo, exec_lo, s2
	s_waitcnt lgkmcnt(0)
	v_add_nc_u32_e32 v17, v19, v0
	s_mov_b32 s3, exec_lo
	s_delay_alu instid0(VALU_DEP_1)
	v_cmpx_lt_i32_e64 v17, v20
	s_cbranch_execz .LBB6_56
; %bb.54:                               ;   in Loop: Header=BB6_40 Depth=2
	v_ashrrev_i32_e32 v18, 31, v17
	s_mov_b32 s4, 0
	s_delay_alu instid0(VALU_DEP_1) | instskip(NEXT) | instid1(VALU_DEP_1)
	v_lshlrev_b64 v[18:19], 2, v[17:18]
	v_add_co_u32 v18, vcc_lo, s34, v18
	s_delay_alu instid0(VALU_DEP_2)
	v_add_co_ci_u32_e32 v19, vcc_lo, s35, v19, vcc_lo
	.p2align	6
.LBB6_55:                               ;   Parent Loop BB6_7 Depth=1
                                        ;     Parent Loop BB6_40 Depth=2
                                        ; =>    This Inner Loop Header: Depth=3
	s_delay_alu instid0(VALU_DEP_2) | instskip(NEXT) | instid1(VALU_DEP_2)
	v_add_co_u32 v21, vcc_lo, s31, v18
	v_add_co_ci_u32_e32 v22, vcc_lo, s61, v19, vcc_lo
	v_add_co_u32 v23, vcc_lo, s62, v18
	v_add_nc_u32_e32 v17, s13, v17
	global_load_b32 v24, v[21:22], off
	v_cmp_ge_i32_e64 s2, v17, v20
	s_delay_alu instid0(VALU_DEP_1)
	s_or_b32 s4, s2, s4
	s_waitcnt vmcnt(0)
	v_mul_f32_e32 v25, v1, v24
	v_add_co_ci_u32_e32 v24, vcc_lo, s63, v19, vcc_lo
	v_add_co_u32 v18, vcc_lo, v18, s72
	global_store_b32 v[21:22], v25, off
	global_load_b32 v21, v[23:24], off
	v_add_co_ci_u32_e32 v19, vcc_lo, 0, v19, vcc_lo
	s_waitcnt vmcnt(0)
	v_mul_f32_e32 v21, v1, v21
	global_store_b32 v[23:24], v21, off
	s_and_not1_b32 exec_lo, exec_lo, s4
	s_cbranch_execnz .LBB6_55
.LBB6_56:                               ;   in Loop: Header=BB6_40 Depth=2
	s_or_b32 exec_lo, exec_lo, s3
.LBB6_57:                               ;   in Loop: Header=BB6_40 Depth=2
	s_waitcnt_vscnt null, 0x0
	s_barrier
	buffer_gl0_inv
	ds_load_b32 v20, v2 offset:28
	ds_load_2addr_b32 v[17:18], v2 offset1:5
	s_waitcnt lgkmcnt(1)
	v_cmp_gt_i32_e64 s2, s15, v20
	s_waitcnt lgkmcnt(0)
	v_cmp_lt_i32_e32 vcc_lo, v18, v17
	v_mov_b32_e32 v19, v18
	s_delay_alu instid0(VALU_DEP_3) | instskip(NEXT) | instid1(VALU_DEP_1)
	v_cndmask_b32_e64 v1, 0, 1, s2
	v_cmp_ne_u32_e64 s3, 1, v1
	s_cbranch_vccnz .LBB6_139
; %bb.58:                               ;   in Loop: Header=BB6_40 Depth=2
	v_dual_mov_b32 v24, v16 :: v_dual_mov_b32 v23, v15
	v_dual_mov_b32 v22, v14 :: v_dual_mov_b32 v21, v13
	;; [unrolled: 1-line block ×4, first 2 shown]
	s_and_b32 vcc_lo, exec_lo, s3
	s_cbranch_vccz .LBB6_62
.LBB6_59:                               ;   in Loop: Header=BB6_40 Depth=2
	s_cbranch_execz .LBB6_142
	s_branch .LBB6_220
.LBB6_60:                               ;   in Loop: Header=BB6_62 Depth=3
	s_or_b32 exec_lo, exec_lo, s19
	s_waitcnt lgkmcnt(0)
	s_waitcnt_vscnt null, 0x0
	s_barrier
	buffer_gl0_inv
	ds_load_b32 v25, v2
.LBB6_61:                               ;   in Loop: Header=BB6_62 Depth=3
	ds_load_2addr_b32 v[31:32], v2 offset0:5 offset1:7
	s_waitcnt lgkmcnt(0)
	v_cmp_le_i32_e32 vcc_lo, v25, v31
	v_cmp_gt_i32_e64 s3, s15, v32
	s_delay_alu instid0(VALU_DEP_1) | instskip(NEXT) | instid1(SALU_CYCLE_1)
	s_and_b32 s3, vcc_lo, s3
	s_and_not1_b32 vcc_lo, exec_lo, s3
	s_cbranch_vccnz .LBB6_59
.LBB6_62:                               ;   Parent Loop BB6_7 Depth=1
                                        ;     Parent Loop BB6_40 Depth=2
                                        ; =>    This Loop Header: Depth=3
                                        ;         Child Loop BB6_70 Depth 4
                                        ;         Child Loop BB6_89 Depth 4
                                        ;         Child Loop BB6_135 Depth 4
                                        ;           Child Loop BB6_136 Depth 5
	s_and_saveexec_b32 s19, s0
	s_cbranch_execz .LBB6_131
; %bb.63:                               ;   in Loop: Header=BB6_62 Depth=3
	v_cmp_lt_i32_e32 vcc_lo, v25, v31
	s_mov_b32 s3, 0
	s_cbranch_vccnz .LBB6_67
; %bb.64:                               ;   in Loop: Header=BB6_62 Depth=3
	v_ashrrev_i32_e32 v26, 31, v25
	s_mov_b32 s4, -1
	s_delay_alu instid0(VALU_DEP_1)
	v_mov_b32_e32 v27, v26
	v_mov_b32_e32 v26, v25
	;; [unrolled: 1-line block ×3, first 2 shown]
	s_cbranch_execz .LBB6_68
; %bb.65:                               ;   in Loop: Header=BB6_62 Depth=3
	s_and_b32 vcc_lo, exec_lo, s4
	s_cbranch_vccz .LBB6_73
.LBB6_66:                               ;   in Loop: Header=BB6_62 Depth=3
	ds_store_2addr_b32 v2, v28, v25 offset0:1 offset1:4
	s_cbranch_execz .LBB6_74
	s_branch .LBB6_75
.LBB6_67:                               ;   in Loop: Header=BB6_62 Depth=3
	s_mov_b32 s4, 0
                                        ; implicit-def: $vgpr26_vgpr27
	v_mov_b32_e32 v28, v25
.LBB6_68:                               ;   in Loop: Header=BB6_62 Depth=3
	v_ashrrev_i32_e32 v26, 31, v25
	v_mov_b32_e32 v1, v25
	s_delay_alu instid0(VALU_DEP_2) | instskip(NEXT) | instid1(VALU_DEP_1)
	v_lshlrev_b64 v[21:22], 2, v[25:26]
	v_add_co_u32 v27, vcc_lo, s89, v21
	s_delay_alu instid0(VALU_DEP_2)
	v_add_co_ci_u32_e32 v28, vcc_lo, s90, v22, vcc_lo
	v_add_co_u32 v23, vcc_lo, s93, v21
	v_add_co_ci_u32_e32 v24, vcc_lo, s94, v22, vcc_lo
	s_branch .LBB6_70
	.p2align	6
.LBB6_69:                               ;   in Loop: Header=BB6_70 Depth=4
	s_delay_alu instid0(VALU_DEP_1)
	v_add_nc_u32_e32 v1, 1, v18
	v_add_co_u32 v27, vcc_lo, v21, 4
	v_add_co_ci_u32_e32 v28, vcc_lo, 0, v22, vcc_lo
	v_add_co_u32 v23, vcc_lo, v23, 4
	v_add_co_ci_u32_e32 v24, vcc_lo, 0, v24, vcc_lo
	v_cmp_ge_i32_e64 s4, v1, v31
	s_mov_b32 s3, 0
	s_delay_alu instid0(VALU_DEP_1)
	s_and_not1_b32 vcc_lo, exec_lo, s4
	s_cbranch_vccz .LBB6_72
.LBB6_70:                               ;   Parent Loop BB6_7 Depth=1
                                        ;     Parent Loop BB6_40 Depth=2
                                        ;       Parent Loop BB6_62 Depth=3
                                        ; =>      This Inner Loop Header: Depth=4
	s_delay_alu instid0(VALU_DEP_3) | instskip(SKIP_4) | instid1(VALU_DEP_1)
	v_dual_mov_b32 v21, v27 :: v_dual_mov_b32 v22, v28
	global_load_b64 v[27:28], v[23:24], off
	global_load_b32 v18, v[21:22], off
	s_waitcnt vmcnt(0)
	v_dual_mul_f32 v27, v27, v28 :: v_dual_mul_f32 v18, v18, v18
	v_mul_f32_e64 v27, v39, |v27|
	s_delay_alu instid0(VALU_DEP_1) | instskip(SKIP_1) | instid1(VALU_DEP_2)
	v_cmp_le_f32_e64 s3, |v18|, v27
	v_mov_b32_e32 v18, v1
	s_and_b32 vcc_lo, exec_lo, s3
	s_cbranch_vccz .LBB6_69
; %bb.71:                               ;   in Loop: Header=BB6_62 Depth=3
	s_mov_b32 s3, -1
                                        ; implicit-def: $vgpr1
                                        ; implicit-def: $vgpr27_vgpr28
                                        ; implicit-def: $vgpr23_vgpr24
.LBB6_72:                               ;   in Loop: Header=BB6_62 Depth=3
	v_dual_mov_b32 v23, v25 :: v_dual_mov_b32 v24, v26
	v_dual_mov_b32 v28, v31 :: v_dual_mov_b32 v27, v26
	v_mov_b32_e32 v26, v25
	s_xor_b32 s4, s3, -1
	s_mov_b32 s3, -1
	s_and_b32 vcc_lo, exec_lo, s4
	s_cbranch_vccnz .LBB6_66
.LBB6_73:                               ;   in Loop: Header=BB6_62 Depth=3
                                        ; implicit-def: $vgpr28
                                        ; implicit-def: $vgpr26_vgpr27
	s_and_not1_b32 vcc_lo, exec_lo, s3
	s_cbranch_vccnz .LBB6_75
.LBB6_74:                               ;   in Loop: Header=BB6_62 Depth=3
	v_dual_mov_b32 v27, v24 :: v_dual_mov_b32 v26, v23
	v_mov_b32_e32 v28, v18
	ds_store_2addr_b32 v2, v18, v25 offset0:1 offset1:4
	global_store_b32 v[21:22], v2, off
.LBB6_75:                               ;   in Loop: Header=BB6_62 Depth=3
	v_lshlrev_b64 v[30:31], 2, v[26:27]
	v_add_nc_u32_e32 v1, 1, v25
	s_mov_b32 s3, exec_lo
	s_delay_alu instid0(VALU_DEP_2) | instskip(NEXT) | instid1(VALU_DEP_3)
	v_add_co_u32 v26, vcc_lo, s36, v30
	v_add_co_ci_u32_e32 v27, vcc_lo, s37, v31, vcc_lo
	global_load_b32 v46, v[26:27], off
	s_waitcnt vmcnt(0)
	ds_store_b32 v2, v46 offset:8
	v_cmpx_ne_u32_e64 v28, v25
	s_xor_b32 s58, exec_lo, s3
	s_cbranch_execz .LBB6_128
; %bb.76:                               ;   in Loop: Header=BB6_62 Depth=3
	s_mov_b32 s3, exec_lo
	v_cmpx_ne_u32_e64 v28, v1
	s_xor_b32 s4, exec_lo, s3
	s_cbranch_execz .LBB6_104
; %bb.77:                               ;   in Loop: Header=BB6_62 Depth=3
	v_add_co_u32 v30, vcc_lo, s83, v30
	v_add_co_ci_u32_e32 v31, vcc_lo, s84, v31, vcc_lo
	v_ashrrev_i32_e32 v29, 31, v28
	s_mov_b32 s59, exec_lo
	global_load_b32 v1, v[26:27], off offset:4
	global_load_b32 v47, v[30:31], off
	v_lshlrev_b64 v[35:36], 2, v[28:29]
	s_delay_alu instid0(VALU_DEP_1) | instskip(NEXT) | instid1(VALU_DEP_2)
	v_add_co_u32 v33, vcc_lo, s36, v35
	v_add_co_ci_u32_e32 v34, vcc_lo, s37, v36, vcc_lo
	global_load_b32 v48, v[33:34], off
	s_waitcnt vmcnt(2)
	v_sub_f32_e32 v1, v1, v46
	s_waitcnt vmcnt(1)
	v_add_f32_e32 v29, v47, v47
	s_delay_alu instid0(VALU_DEP_1) | instskip(SKIP_1) | instid1(VALU_DEP_2)
	v_div_scale_f32 v49, null, v29, v29, v1
	v_div_scale_f32 v52, vcc_lo, v1, v29, v1
	v_rcp_f32_e32 v50, v49
	s_waitcnt_depctr 0xfff
	v_fma_f32 v51, -v49, v50, 1.0
	s_delay_alu instid0(VALU_DEP_1) | instskip(NEXT) | instid1(VALU_DEP_1)
	v_fmac_f32_e32 v50, v51, v50
	v_mul_f32_e32 v51, v52, v50
	s_delay_alu instid0(VALU_DEP_1) | instskip(NEXT) | instid1(VALU_DEP_1)
	v_fma_f32 v53, -v49, v51, v52
	v_fmac_f32_e32 v51, v53, v50
	s_delay_alu instid0(VALU_DEP_1) | instskip(NEXT) | instid1(VALU_DEP_1)
	v_fma_f32 v49, -v49, v51, v52
	v_div_fmas_f32 v49, v49, v50, v51
	s_delay_alu instid0(VALU_DEP_1) | instskip(NEXT) | instid1(VALU_DEP_1)
	v_div_fixup_f32 v1, v49, v29, v1
	v_fma_f32 v29, v1, v1, 1.0
	s_delay_alu instid0(VALU_DEP_1) | instskip(SKIP_1) | instid1(VALU_DEP_2)
	v_mul_f32_e32 v49, 0x4f800000, v29
	v_cmp_gt_f32_e32 vcc_lo, 0xf800000, v29
	v_cndmask_b32_e32 v29, v29, v49, vcc_lo
	s_delay_alu instid0(VALU_DEP_1) | instskip(SKIP_3) | instid1(VALU_DEP_2)
	v_sqrt_f32_e32 v49, v29
	s_waitcnt_depctr 0xfff
	v_add_nc_u32_e32 v50, -1, v49
	v_add_nc_u32_e32 v51, 1, v49
	v_fma_f32 v52, -v50, v49, v29
	s_delay_alu instid0(VALU_DEP_2) | instskip(NEXT) | instid1(VALU_DEP_2)
	v_fma_f32 v53, -v51, v49, v29
	v_cmp_ge_f32_e64 s3, 0, v52
	s_delay_alu instid0(VALU_DEP_1) | instskip(NEXT) | instid1(VALU_DEP_3)
	v_cndmask_b32_e64 v49, v49, v50, s3
	v_cmp_lt_f32_e64 s3, 0, v53
	s_delay_alu instid0(VALU_DEP_1) | instskip(NEXT) | instid1(VALU_DEP_1)
	v_cndmask_b32_e64 v49, v49, v51, s3
	v_mul_f32_e32 v50, 0x37800000, v49
	s_delay_alu instid0(VALU_DEP_1) | instskip(SKIP_1) | instid1(VALU_DEP_2)
	v_cndmask_b32_e32 v49, v49, v50, vcc_lo
	v_cmp_class_f32_e64 vcc_lo, v29, 0x260
	v_cndmask_b32_e32 v29, v49, v29, vcc_lo
	v_cmp_nle_f32_e32 vcc_lo, 0, v1
	s_delay_alu instid0(VALU_DEP_2) | instskip(NEXT) | instid1(VALU_DEP_1)
	v_cndmask_b32_e64 v29, |v29|, -|v29|, vcc_lo
	v_add_f32_e32 v1, v1, v29
	s_delay_alu instid0(VALU_DEP_1) | instskip(SKIP_1) | instid1(VALU_DEP_2)
	v_div_scale_f32 v29, null, v1, v1, v47
	v_div_scale_f32 v51, vcc_lo, v47, v1, v47
	v_rcp_f32_e32 v49, v29
	s_waitcnt_depctr 0xfff
	v_fma_f32 v50, -v29, v49, 1.0
	s_delay_alu instid0(VALU_DEP_1) | instskip(NEXT) | instid1(VALU_DEP_1)
	v_fmac_f32_e32 v49, v50, v49
	v_mul_f32_e32 v50, v51, v49
	s_delay_alu instid0(VALU_DEP_1) | instskip(NEXT) | instid1(VALU_DEP_1)
	v_fma_f32 v52, -v29, v50, v51
	v_fmac_f32_e32 v50, v52, v49
	s_delay_alu instid0(VALU_DEP_1) | instskip(NEXT) | instid1(VALU_DEP_1)
	v_fma_f32 v29, -v29, v50, v51
	v_div_fmas_f32 v29, v29, v49, v50
	s_waitcnt vmcnt(0)
	v_sub_f32_e32 v49, v48, v46
	s_delay_alu instid0(VALU_DEP_2) | instskip(SKIP_2) | instid1(VALU_DEP_3)
	v_div_fixup_f32 v1, v29, v1, v47
	v_add_nc_u32_e32 v29, 1, v32
	v_mov_b32_e32 v47, 0
	v_add_f32_e32 v1, v49, v1
	ds_store_2addr_b32 v2, v2, v29 offset0:2 offset1:7
	v_cmpx_gt_i32_e64 v28, v25
	s_cbranch_execz .LBB6_103
; %bb.78:                               ;   in Loop: Header=BB6_62 Depth=3
	v_add_co_u32 v46, vcc_lo, s87, v35
	v_add_co_ci_u32_e32 v47, vcc_lo, s88, v36, vcc_lo
	v_mov_b32_e32 v29, 1.0
	v_mov_b32_e32 v49, 0
	s_mov_b32 s50, exec_lo
	global_load_b32 v46, v[46:47], off
	s_waitcnt vmcnt(0)
	v_cmpx_neq_f32_e32 0, v46
	s_cbranch_execz .LBB6_86
; %bb.79:                               ;   in Loop: Header=BB6_62 Depth=3
	v_mov_b32_e32 v49, 1.0
	v_mov_b32_e32 v29, 0
	s_mov_b32 s51, exec_lo
	v_cmpx_neq_f32_e32 0, v1
	s_cbranch_execz .LBB6_85
; %bb.80:                               ;   in Loop: Header=BB6_62 Depth=3
	s_mov_b32 s52, exec_lo
                                        ; implicit-def: $vgpr49
                                        ; implicit-def: $vgpr29
	v_cmpx_ngt_f32_e64 |v46|, |v1|
	s_xor_b32 s52, exec_lo, s52
	s_cbranch_execz .LBB6_82
; %bb.81:                               ;   in Loop: Header=BB6_62 Depth=3
	v_div_scale_f32 v29, null, v1, v1, -v46
	v_div_scale_f32 v49, vcc_lo, -v46, v1, -v46
	s_delay_alu instid0(VALU_DEP_2) | instskip(SKIP_2) | instid1(VALU_DEP_1)
	v_rcp_f32_e32 v32, v29
	s_waitcnt_depctr 0xfff
	v_fma_f32 v47, -v29, v32, 1.0
	v_fmac_f32_e32 v32, v47, v32
	s_delay_alu instid0(VALU_DEP_1) | instskip(NEXT) | instid1(VALU_DEP_1)
	v_mul_f32_e32 v47, v49, v32
	v_fma_f32 v50, -v29, v47, v49
	s_delay_alu instid0(VALU_DEP_1) | instskip(NEXT) | instid1(VALU_DEP_1)
	v_fmac_f32_e32 v47, v50, v32
	v_fma_f32 v29, -v29, v47, v49
	s_delay_alu instid0(VALU_DEP_1) | instskip(NEXT) | instid1(VALU_DEP_1)
	v_div_fmas_f32 v29, v29, v32, v47
	v_div_fixup_f32 v1, v29, v1, -v46
	s_delay_alu instid0(VALU_DEP_1) | instskip(NEXT) | instid1(VALU_DEP_1)
	v_fma_f32 v29, v1, v1, 1.0
	v_mul_f32_e32 v32, 0x4f800000, v29
	v_cmp_gt_f32_e32 vcc_lo, 0xf800000, v29
	s_delay_alu instid0(VALU_DEP_2) | instskip(NEXT) | instid1(VALU_DEP_1)
	v_cndmask_b32_e32 v29, v29, v32, vcc_lo
	v_sqrt_f32_e32 v32, v29
	s_waitcnt_depctr 0xfff
	v_add_nc_u32_e32 v47, -1, v32
	v_add_nc_u32_e32 v49, 1, v32
	s_delay_alu instid0(VALU_DEP_2) | instskip(NEXT) | instid1(VALU_DEP_2)
	v_fma_f32 v50, -v47, v32, v29
	v_fma_f32 v51, -v49, v32, v29
	s_delay_alu instid0(VALU_DEP_2) | instskip(NEXT) | instid1(VALU_DEP_1)
	v_cmp_ge_f32_e64 s3, 0, v50
	v_cndmask_b32_e64 v32, v32, v47, s3
	s_delay_alu instid0(VALU_DEP_3) | instskip(NEXT) | instid1(VALU_DEP_1)
	v_cmp_lt_f32_e64 s3, 0, v51
	v_cndmask_b32_e64 v32, v32, v49, s3
	s_delay_alu instid0(VALU_DEP_1) | instskip(NEXT) | instid1(VALU_DEP_1)
	v_mul_f32_e32 v47, 0x37800000, v32
	v_cndmask_b32_e32 v32, v32, v47, vcc_lo
	v_cmp_class_f32_e64 vcc_lo, v29, 0x260
	s_delay_alu instid0(VALU_DEP_2) | instskip(NEXT) | instid1(VALU_DEP_1)
	v_cndmask_b32_e32 v29, v32, v29, vcc_lo
	v_div_scale_f32 v32, null, v29, v29, 1.0
	s_delay_alu instid0(VALU_DEP_1) | instskip(SKIP_2) | instid1(VALU_DEP_1)
	v_rcp_f32_e32 v47, v32
	s_waitcnt_depctr 0xfff
	v_fma_f32 v49, -v32, v47, 1.0
	v_fmac_f32_e32 v47, v49, v47
	v_div_scale_f32 v49, vcc_lo, 1.0, v29, 1.0
	s_delay_alu instid0(VALU_DEP_1) | instskip(NEXT) | instid1(VALU_DEP_1)
	v_mul_f32_e32 v50, v49, v47
	v_fma_f32 v51, -v32, v50, v49
	s_delay_alu instid0(VALU_DEP_1) | instskip(NEXT) | instid1(VALU_DEP_1)
	v_fmac_f32_e32 v50, v51, v47
	v_fma_f32 v32, -v32, v50, v49
	s_delay_alu instid0(VALU_DEP_1) | instskip(NEXT) | instid1(VALU_DEP_1)
	v_div_fmas_f32 v32, v32, v47, v50
	v_div_fixup_f32 v29, v32, v29, 1.0
	s_delay_alu instid0(VALU_DEP_1)
	v_mul_f32_e32 v49, v1, v29
                                        ; implicit-def: $vgpr1
.LBB6_82:                               ;   in Loop: Header=BB6_62 Depth=3
	s_and_not1_saveexec_b32 s52, s52
	s_cbranch_execz .LBB6_84
; %bb.83:                               ;   in Loop: Header=BB6_62 Depth=3
	v_div_scale_f32 v29, null, v46, v46, -v1
	v_div_scale_f32 v49, vcc_lo, -v1, v46, -v1
	s_delay_alu instid0(VALU_DEP_2) | instskip(SKIP_2) | instid1(VALU_DEP_1)
	v_rcp_f32_e32 v32, v29
	s_waitcnt_depctr 0xfff
	v_fma_f32 v47, -v29, v32, 1.0
	v_fmac_f32_e32 v32, v47, v32
	s_delay_alu instid0(VALU_DEP_1) | instskip(NEXT) | instid1(VALU_DEP_1)
	v_mul_f32_e32 v47, v49, v32
	v_fma_f32 v50, -v29, v47, v49
	s_delay_alu instid0(VALU_DEP_1) | instskip(NEXT) | instid1(VALU_DEP_1)
	v_fmac_f32_e32 v47, v50, v32
	v_fma_f32 v29, -v29, v47, v49
	s_delay_alu instid0(VALU_DEP_1) | instskip(NEXT) | instid1(VALU_DEP_1)
	v_div_fmas_f32 v29, v29, v32, v47
	v_div_fixup_f32 v1, v29, v46, -v1
	s_delay_alu instid0(VALU_DEP_1) | instskip(NEXT) | instid1(VALU_DEP_1)
	v_fma_f32 v29, v1, v1, 1.0
	v_mul_f32_e32 v32, 0x4f800000, v29
	v_cmp_gt_f32_e32 vcc_lo, 0xf800000, v29
	s_delay_alu instid0(VALU_DEP_2) | instskip(NEXT) | instid1(VALU_DEP_1)
	v_cndmask_b32_e32 v29, v29, v32, vcc_lo
	v_sqrt_f32_e32 v32, v29
	s_waitcnt_depctr 0xfff
	v_add_nc_u32_e32 v47, -1, v32
	v_add_nc_u32_e32 v49, 1, v32
	s_delay_alu instid0(VALU_DEP_2) | instskip(NEXT) | instid1(VALU_DEP_2)
	v_fma_f32 v50, -v47, v32, v29
	v_fma_f32 v51, -v49, v32, v29
	s_delay_alu instid0(VALU_DEP_2) | instskip(NEXT) | instid1(VALU_DEP_1)
	v_cmp_ge_f32_e64 s3, 0, v50
	v_cndmask_b32_e64 v32, v32, v47, s3
	s_delay_alu instid0(VALU_DEP_3) | instskip(NEXT) | instid1(VALU_DEP_1)
	v_cmp_lt_f32_e64 s3, 0, v51
	v_cndmask_b32_e64 v32, v32, v49, s3
	s_delay_alu instid0(VALU_DEP_1) | instskip(NEXT) | instid1(VALU_DEP_1)
	v_mul_f32_e32 v47, 0x37800000, v32
	v_cndmask_b32_e32 v32, v32, v47, vcc_lo
	v_cmp_class_f32_e64 vcc_lo, v29, 0x260
	s_delay_alu instid0(VALU_DEP_2) | instskip(NEXT) | instid1(VALU_DEP_1)
	v_cndmask_b32_e32 v29, v32, v29, vcc_lo
	v_div_scale_f32 v32, null, v29, v29, 1.0
	s_delay_alu instid0(VALU_DEP_1) | instskip(SKIP_2) | instid1(VALU_DEP_1)
	v_rcp_f32_e32 v47, v32
	s_waitcnt_depctr 0xfff
	v_fma_f32 v49, -v32, v47, 1.0
	v_fmac_f32_e32 v47, v49, v47
	v_div_scale_f32 v49, vcc_lo, 1.0, v29, 1.0
	s_delay_alu instid0(VALU_DEP_1) | instskip(NEXT) | instid1(VALU_DEP_1)
	v_mul_f32_e32 v50, v49, v47
	v_fma_f32 v51, -v32, v50, v49
	s_delay_alu instid0(VALU_DEP_1) | instskip(NEXT) | instid1(VALU_DEP_1)
	v_fmac_f32_e32 v50, v51, v47
	v_fma_f32 v32, -v32, v50, v49
	s_delay_alu instid0(VALU_DEP_1) | instskip(NEXT) | instid1(VALU_DEP_1)
	v_div_fmas_f32 v32, v32, v47, v50
	v_div_fixup_f32 v49, v32, v29, 1.0
	s_delay_alu instid0(VALU_DEP_1)
	v_mul_f32_e32 v29, v1, v49
.LBB6_84:                               ;   in Loop: Header=BB6_62 Depth=3
	s_or_b32 exec_lo, exec_lo, s52
.LBB6_85:                               ;   in Loop: Header=BB6_62 Depth=3
	s_delay_alu instid0(SALU_CYCLE_1)
	s_or_b32 exec_lo, exec_lo, s51
.LBB6_86:                               ;   in Loop: Header=BB6_62 Depth=3
	s_delay_alu instid0(SALU_CYCLE_1)
	s_or_b32 exec_lo, exec_lo, s50
	global_load_b32 v1, v[33:34], off offset:-4
	v_dual_add_f32 v47, v29, v29 :: v_dual_add_nc_u32 v32, -1, v28
	v_add_co_u32 v35, vcc_lo, s40, v35
	v_add_co_ci_u32_e32 v36, vcc_lo, s41, v36, vcc_lo
	s_mov_b32 s100, exec_lo
	s_delay_alu instid0(VALU_DEP_2) | instskip(NEXT) | instid1(VALU_DEP_2)
	v_add_co_u32 v50, vcc_lo, v35, s42
	v_add_co_ci_u32_e32 v51, vcc_lo, s43, v36, vcc_lo
	s_waitcnt vmcnt(0)
	v_sub_f32_e32 v1, v1, v48
	s_delay_alu instid0(VALU_DEP_1) | instskip(NEXT) | instid1(VALU_DEP_1)
	v_mul_f32_e32 v1, v49, v1
	v_fma_f32 v1, v46, v47, -v1
	s_delay_alu instid0(VALU_DEP_1)
	v_mul_f32_e64 v47, v1, -v49
	v_fma_f32 v48, v1, -v49, v48
	v_fma_f32 v1, v29, v1, -v46
	ds_store_b32 v2, v47 offset:8
	global_store_b32 v[33:34], v48, off
	s_clause 0x1
	global_store_b32 v[35:36], v29, off
	global_store_b32 v[50:51], v49, off offset:-4
	v_cmpx_gt_i32_e64 v32, v25
	s_cbranch_execz .LBB6_102
; %bb.87:                               ;   in Loop: Header=BB6_62 Depth=3
	v_ashrrev_i32_e32 v33, 31, v32
	v_xor_b32_e32 v46, 0x80000000, v49
	s_mov_b32 s101, -1
	s_mov_b32 s102, 0
	s_mov_b64 s[50:51], s[46:47]
	v_lshlrev_b64 v[32:33], 2, v[32:33]
	s_mov_b64 s[52:53], s[36:37]
	s_mov_b64 s[54:55], s[44:45]
	;; [unrolled: 1-line block ×3, first 2 shown]
	s_branch .LBB6_89
.LBB6_88:                               ;   in Loop: Header=BB6_89 Depth=4
	v_add_co_u32 v34, vcc_lo, s52, v32
	v_add_co_ci_u32_e32 v35, vcc_lo, s53, v33, vcc_lo
	v_mul_f32_e32 v1, v29, v36
	v_xor_b32_e32 v46, 0x80000000, v48
	global_load_b64 v[50:51], v[34:35], off offset:-4
	s_waitcnt vmcnt(0)
	v_dual_add_f32 v36, v49, v49 :: v_dual_sub_f32 v47, v51, v47
	v_add_co_u32 v51, vcc_lo, s56, v32
	v_add_co_ci_u32_e32 v52, vcc_lo, s57, v33, vcc_lo
	s_delay_alu instid0(VALU_DEP_3)
	v_sub_f32_e32 v29, v50, v47
	s_add_u32 s56, s56, -4
	v_add_co_u32 v53, vcc_lo, s54, v32
	s_addc_u32 s57, s57, -1
	s_add_u32 s54, s54, -4
	v_mul_f32_e32 v50, v48, v29
	v_add_co_ci_u32_e32 v54, vcc_lo, s55, v33, vcc_lo
	s_addc_u32 s55, s55, -1
	s_add_i32 s101, s101, -1
	s_delay_alu instid0(VALU_DEP_2)
	v_fma_f32 v36, v1, v36, -v50
	v_add_nc_u32_e32 v55, s101, v28
	s_add_u32 s52, s52, -4
	v_mov_b32_e32 v29, v49
	s_addc_u32 s53, s53, -1
	v_fma_f32 v50, v36, -v48, v47
	v_cmp_le_i32_e32 vcc_lo, v55, v25
	v_mul_f32_e64 v47, v36, -v48
	v_fma_f32 v1, v49, v36, -v1
	s_add_u32 s50, s50, -4
	s_addc_u32 s51, s51, -1
	s_or_b32 s102, vcc_lo, s102
	global_store_b32 v[34:35], v50, off
	global_store_b32 v[51:52], v49, off
	;; [unrolled: 1-line block ×3, first 2 shown]
	s_and_not1_b32 exec_lo, exec_lo, s102
	s_cbranch_execz .LBB6_101
.LBB6_89:                               ;   Parent Loop BB6_7 Depth=1
                                        ;     Parent Loop BB6_40 Depth=2
                                        ;       Parent Loop BB6_62 Depth=3
                                        ; =>      This Inner Loop Header: Depth=4
	s_delay_alu instid0(VALU_DEP_1)
	v_add_co_u32 v34, vcc_lo, s50, v32
	v_add_co_ci_u32_e32 v35, vcc_lo, s51, v33, vcc_lo
	v_mov_b32_e32 v48, 0
	s_mov_b32 s103, exec_lo
	v_mov_b32_e32 v49, 1.0
	global_load_b32 v36, v[34:35], off
	s_waitcnt vmcnt(0)
	v_mul_f32_e32 v46, v46, v36
	s_delay_alu instid0(VALU_DEP_1)
	v_cmpx_neq_f32_e32 0, v46
	s_cbranch_execz .LBB6_99
; %bb.90:                               ;   in Loop: Header=BB6_89 Depth=4
                                        ; implicit-def: $vgpr48
                                        ; implicit-def: $vgpr49
	s_mov_b32 s3, exec_lo
	v_cmpx_neq_f32_e32 0, v1
	s_xor_b32 s104, exec_lo, s3
	s_cbranch_execz .LBB6_96
; %bb.91:                               ;   in Loop: Header=BB6_89 Depth=4
                                        ; implicit-def: $vgpr48
                                        ; implicit-def: $vgpr49
	s_mov_b32 vcc_lo, exec_lo
	v_cmpx_ngt_f32_e64 |v46|, |v1|
	s_xor_b32 vcc_hi, exec_lo, vcc_lo
	s_cbranch_execz .LBB6_93
; %bb.92:                               ;   in Loop: Header=BB6_89 Depth=4
	v_div_scale_f32 v48, null, v1, v1, -v46
	v_div_scale_f32 v51, vcc_lo, -v46, v1, -v46
	s_delay_alu instid0(VALU_DEP_2) | instskip(SKIP_2) | instid1(VALU_DEP_1)
	v_rcp_f32_e32 v49, v48
	s_waitcnt_depctr 0xfff
	v_fma_f32 v50, -v48, v49, 1.0
	v_fmac_f32_e32 v49, v50, v49
	s_delay_alu instid0(VALU_DEP_1) | instskip(NEXT) | instid1(VALU_DEP_1)
	v_mul_f32_e32 v50, v51, v49
	v_fma_f32 v52, -v48, v50, v51
	s_delay_alu instid0(VALU_DEP_1) | instskip(NEXT) | instid1(VALU_DEP_1)
	v_fmac_f32_e32 v50, v52, v49
	v_fma_f32 v48, -v48, v50, v51
	s_delay_alu instid0(VALU_DEP_1) | instskip(NEXT) | instid1(VALU_DEP_1)
	v_div_fmas_f32 v48, v48, v49, v50
	v_div_fixup_f32 v48, v48, v1, -v46
	s_delay_alu instid0(VALU_DEP_1) | instskip(NEXT) | instid1(VALU_DEP_1)
	v_fma_f32 v49, v48, v48, 1.0
	v_mul_f32_e32 v50, 0x4f800000, v49
	v_cmp_gt_f32_e32 vcc_lo, 0xf800000, v49
	s_delay_alu instid0(VALU_DEP_2) | instskip(NEXT) | instid1(VALU_DEP_1)
	v_cndmask_b32_e32 v49, v49, v50, vcc_lo
	v_sqrt_f32_e32 v50, v49
	s_waitcnt_depctr 0xfff
	v_add_nc_u32_e32 v51, -1, v50
	v_add_nc_u32_e32 v52, 1, v50
	s_delay_alu instid0(VALU_DEP_2) | instskip(NEXT) | instid1(VALU_DEP_2)
	v_fma_f32 v53, -v51, v50, v49
	v_fma_f32 v54, -v52, v50, v49
	s_delay_alu instid0(VALU_DEP_2) | instskip(NEXT) | instid1(VALU_DEP_1)
	v_cmp_ge_f32_e64 s3, 0, v53
	v_cndmask_b32_e64 v50, v50, v51, s3
	s_delay_alu instid0(VALU_DEP_3) | instskip(NEXT) | instid1(VALU_DEP_1)
	v_cmp_lt_f32_e64 s3, 0, v54
	v_cndmask_b32_e64 v50, v50, v52, s3
	s_delay_alu instid0(VALU_DEP_1) | instskip(NEXT) | instid1(VALU_DEP_1)
	v_mul_f32_e32 v51, 0x37800000, v50
	v_cndmask_b32_e32 v50, v50, v51, vcc_lo
	v_cmp_class_f32_e64 vcc_lo, v49, 0x260
	s_delay_alu instid0(VALU_DEP_2) | instskip(NEXT) | instid1(VALU_DEP_1)
	v_cndmask_b32_e32 v49, v50, v49, vcc_lo
	v_div_scale_f32 v50, null, v49, v49, 1.0
	s_delay_alu instid0(VALU_DEP_1) | instskip(SKIP_2) | instid1(VALU_DEP_1)
	v_rcp_f32_e32 v51, v50
	s_waitcnt_depctr 0xfff
	v_fma_f32 v52, -v50, v51, 1.0
	v_fmac_f32_e32 v51, v52, v51
	v_div_scale_f32 v52, vcc_lo, 1.0, v49, 1.0
	s_delay_alu instid0(VALU_DEP_1) | instskip(NEXT) | instid1(VALU_DEP_1)
	v_mul_f32_e32 v53, v52, v51
	v_fma_f32 v54, -v50, v53, v52
	s_delay_alu instid0(VALU_DEP_1) | instskip(NEXT) | instid1(VALU_DEP_1)
	v_fmac_f32_e32 v53, v54, v51
	v_fma_f32 v50, -v50, v53, v52
	s_delay_alu instid0(VALU_DEP_1) | instskip(NEXT) | instid1(VALU_DEP_1)
	v_div_fmas_f32 v50, v50, v51, v53
	v_div_fixup_f32 v49, v50, v49, 1.0
	s_delay_alu instid0(VALU_DEP_1)
	v_mul_f32_e32 v48, v48, v49
.LBB6_93:                               ;   in Loop: Header=BB6_89 Depth=4
	s_and_not1_saveexec_b32 vcc_hi, vcc_hi
	s_cbranch_execz .LBB6_95
; %bb.94:                               ;   in Loop: Header=BB6_89 Depth=4
	v_div_scale_f32 v48, null, v46, v46, -v1
	v_div_scale_f32 v51, vcc_lo, -v1, v46, -v1
	s_delay_alu instid0(VALU_DEP_2) | instskip(SKIP_2) | instid1(VALU_DEP_1)
	v_rcp_f32_e32 v49, v48
	s_waitcnt_depctr 0xfff
	v_fma_f32 v50, -v48, v49, 1.0
	v_fmac_f32_e32 v49, v50, v49
	s_delay_alu instid0(VALU_DEP_1) | instskip(NEXT) | instid1(VALU_DEP_1)
	v_mul_f32_e32 v50, v51, v49
	v_fma_f32 v52, -v48, v50, v51
	s_delay_alu instid0(VALU_DEP_1) | instskip(NEXT) | instid1(VALU_DEP_1)
	v_fmac_f32_e32 v50, v52, v49
	v_fma_f32 v48, -v48, v50, v51
	s_delay_alu instid0(VALU_DEP_1) | instskip(NEXT) | instid1(VALU_DEP_1)
	v_div_fmas_f32 v48, v48, v49, v50
	v_div_fixup_f32 v49, v48, v46, -v1
	s_delay_alu instid0(VALU_DEP_1) | instskip(NEXT) | instid1(VALU_DEP_1)
	v_fma_f32 v48, v49, v49, 1.0
	v_mul_f32_e32 v50, 0x4f800000, v48
	v_cmp_gt_f32_e32 vcc_lo, 0xf800000, v48
	s_delay_alu instid0(VALU_DEP_2) | instskip(NEXT) | instid1(VALU_DEP_1)
	v_cndmask_b32_e32 v48, v48, v50, vcc_lo
	v_sqrt_f32_e32 v50, v48
	s_waitcnt_depctr 0xfff
	v_add_nc_u32_e32 v51, -1, v50
	v_add_nc_u32_e32 v52, 1, v50
	s_delay_alu instid0(VALU_DEP_2) | instskip(NEXT) | instid1(VALU_DEP_2)
	v_fma_f32 v53, -v51, v50, v48
	v_fma_f32 v54, -v52, v50, v48
	s_delay_alu instid0(VALU_DEP_2) | instskip(NEXT) | instid1(VALU_DEP_1)
	v_cmp_ge_f32_e64 s3, 0, v53
	v_cndmask_b32_e64 v50, v50, v51, s3
	s_delay_alu instid0(VALU_DEP_3) | instskip(NEXT) | instid1(VALU_DEP_1)
	v_cmp_lt_f32_e64 s3, 0, v54
	v_cndmask_b32_e64 v50, v50, v52, s3
	s_delay_alu instid0(VALU_DEP_1) | instskip(NEXT) | instid1(VALU_DEP_1)
	v_mul_f32_e32 v51, 0x37800000, v50
	v_cndmask_b32_e32 v50, v50, v51, vcc_lo
	v_cmp_class_f32_e64 vcc_lo, v48, 0x260
	s_delay_alu instid0(VALU_DEP_2) | instskip(NEXT) | instid1(VALU_DEP_1)
	v_cndmask_b32_e32 v48, v50, v48, vcc_lo
	v_div_scale_f32 v50, null, v48, v48, 1.0
	s_delay_alu instid0(VALU_DEP_1) | instskip(SKIP_2) | instid1(VALU_DEP_1)
	v_rcp_f32_e32 v51, v50
	s_waitcnt_depctr 0xfff
	v_fma_f32 v52, -v50, v51, 1.0
	v_fmac_f32_e32 v51, v52, v51
	v_div_scale_f32 v52, vcc_lo, 1.0, v48, 1.0
	s_delay_alu instid0(VALU_DEP_1) | instskip(NEXT) | instid1(VALU_DEP_1)
	v_mul_f32_e32 v53, v52, v51
	v_fma_f32 v54, -v50, v53, v52
	s_delay_alu instid0(VALU_DEP_1) | instskip(NEXT) | instid1(VALU_DEP_1)
	v_fmac_f32_e32 v53, v54, v51
	v_fma_f32 v50, -v50, v53, v52
	s_delay_alu instid0(VALU_DEP_1) | instskip(NEXT) | instid1(VALU_DEP_1)
	v_div_fmas_f32 v50, v50, v51, v53
	v_div_fixup_f32 v48, v50, v48, 1.0
	s_delay_alu instid0(VALU_DEP_1)
	v_mul_f32_e32 v49, v49, v48
.LBB6_95:                               ;   in Loop: Header=BB6_89 Depth=4
	s_or_b32 exec_lo, exec_lo, vcc_hi
	s_delay_alu instid0(VALU_DEP_1) | instskip(NEXT) | instid1(VALU_DEP_1)
	v_mul_f32_e32 v46, v46, v48
	v_fma_f32 v1, v1, v49, -v46
                                        ; implicit-def: $vgpr46
.LBB6_96:                               ;   in Loop: Header=BB6_89 Depth=4
	s_and_not1_saveexec_b32 s3, s104
; %bb.97:                               ;   in Loop: Header=BB6_89 Depth=4
	v_xor_b32_e32 v1, 0x80000000, v46
	v_dual_mov_b32 v48, 1.0 :: v_dual_mov_b32 v49, 0
; %bb.98:                               ;   in Loop: Header=BB6_89 Depth=4
	s_or_b32 exec_lo, exec_lo, s3
.LBB6_99:                               ;   in Loop: Header=BB6_89 Depth=4
	s_delay_alu instid0(SALU_CYCLE_1)
	s_or_b32 exec_lo, exec_lo, s103
	s_cmp_eq_u32 s101, 0
	s_cbranch_scc1 .LBB6_88
; %bb.100:                              ;   in Loop: Header=BB6_89 Depth=4
	global_store_b32 v[34:35], v1, off offset:4
	s_branch .LBB6_88
.LBB6_101:                              ;   in Loop: Header=BB6_62 Depth=3
	s_or_b32 exec_lo, exec_lo, s102
	ds_store_b32 v2, v47 offset:8
.LBB6_102:                              ;   in Loop: Header=BB6_62 Depth=3
	s_or_b32 exec_lo, exec_lo, s100
	global_load_b32 v46, v[26:27], off
.LBB6_103:                              ;   in Loop: Header=BB6_62 Depth=3
	s_or_b32 exec_lo, exec_lo, s59
	s_waitcnt vmcnt(0)
	v_sub_f32_e32 v25, v46, v47
                                        ; implicit-def: $vgpr46
	global_store_b32 v[26:27], v25, off
	global_store_b32 v[30:31], v1, off
                                        ; implicit-def: $vgpr30_vgpr31
                                        ; implicit-def: $vgpr26_vgpr27
                                        ; implicit-def: $vgpr25
.LBB6_104:                              ;   in Loop: Header=BB6_62 Depth=3
	s_and_not1_saveexec_b32 s50, s4
	s_cbranch_execz .LBB6_137
; %bb.105:                              ;   in Loop: Header=BB6_62 Depth=3
	v_add_co_u32 v28, vcc_lo, s83, v30
	v_add_co_ci_u32_e32 v29, vcc_lo, s84, v31, vcc_lo
	s_mov_b32 s4, exec_lo
                                        ; implicit-def: $vgpr35
	global_load_b32 v36, v[28:29], off
	global_load_b32 v32, v[26:27], off offset:4
	s_waitcnt vmcnt(1)
	v_add_f32_e32 v1, v36, v36
	s_waitcnt vmcnt(0)
	s_delay_alu instid0(VALU_DEP_1) | instskip(NEXT) | instid1(VALU_DEP_1)
	v_dual_sub_f32 v34, v46, v32 :: v_dual_and_b32 v33, 0x7fffffff, v1
	v_cmpx_ngt_f32_e64 |v34|, |v1|
	s_xor_b32 s4, exec_lo, s4
	s_cbranch_execz .LBB6_111
; %bb.106:                              ;   in Loop: Header=BB6_62 Depth=3
	v_cmp_nlt_f32_e64 s3, |v34|, |v1|
                                        ; implicit-def: $vgpr35
	s_delay_alu instid0(VALU_DEP_1) | instskip(NEXT) | instid1(SALU_CYCLE_1)
	s_and_saveexec_b32 s51, s3
	s_xor_b32 s3, exec_lo, s51
; %bb.107:                              ;   in Loop: Header=BB6_62 Depth=3
	v_cvt_f64_f32_e32 v[47:48], v33
                                        ; implicit-def: $vgpr33
	s_delay_alu instid0(VALU_DEP_1) | instskip(NEXT) | instid1(VALU_DEP_1)
	v_mul_f64 v[47:48], v[47:48], s[16:17]
	v_cvt_f32_f64_e32 v35, v[47:48]
; %bb.108:                              ;   in Loop: Header=BB6_62 Depth=3
	s_and_not1_saveexec_b32 s51, s3
	s_cbranch_execz .LBB6_110
; %bb.109:                              ;   in Loop: Header=BB6_62 Depth=3
	v_and_b32_e32 v35, 0x7fffffff, v34
	s_delay_alu instid0(VALU_DEP_1) | instskip(NEXT) | instid1(VALU_DEP_1)
	v_div_scale_f32 v47, null, v33, v33, v35
	v_rcp_f32_e32 v48, v47
	s_waitcnt_depctr 0xfff
	v_fma_f32 v49, -v47, v48, 1.0
	s_delay_alu instid0(VALU_DEP_1) | instskip(SKIP_1) | instid1(VALU_DEP_1)
	v_fmac_f32_e32 v48, v49, v48
	v_div_scale_f32 v33, vcc_lo, v35, v33, v35
	v_mul_f32_e32 v35, v33, v48
	s_delay_alu instid0(VALU_DEP_1) | instskip(NEXT) | instid1(VALU_DEP_1)
	v_fma_f32 v49, -v47, v35, v33
	v_fmac_f32_e32 v35, v49, v48
	s_delay_alu instid0(VALU_DEP_1) | instskip(NEXT) | instid1(VALU_DEP_1)
	v_fma_f32 v33, -v47, v35, v33
	v_div_fmas_f32 v33, v33, v48, v35
	s_delay_alu instid0(VALU_DEP_1) | instskip(NEXT) | instid1(VALU_DEP_1)
	v_div_fixup_f32 v33, v33, |v1|, |v34|
	v_fma_f32 v33, v33, v33, 1.0
	s_delay_alu instid0(VALU_DEP_1) | instskip(SKIP_1) | instid1(VALU_DEP_2)
	v_mul_f32_e32 v35, 0x4f800000, v33
	v_cmp_gt_f32_e32 vcc_lo, 0xf800000, v33
	v_cndmask_b32_e32 v33, v33, v35, vcc_lo
	s_delay_alu instid0(VALU_DEP_1) | instskip(SKIP_3) | instid1(VALU_DEP_2)
	v_sqrt_f32_e32 v35, v33
	s_waitcnt_depctr 0xfff
	v_add_nc_u32_e32 v47, -1, v35
	v_add_nc_u32_e32 v48, 1, v35
	v_fma_f32 v49, -v47, v35, v33
	s_delay_alu instid0(VALU_DEP_2) | instskip(NEXT) | instid1(VALU_DEP_2)
	v_fma_f32 v50, -v48, v35, v33
	v_cmp_ge_f32_e64 s3, 0, v49
	s_delay_alu instid0(VALU_DEP_1) | instskip(NEXT) | instid1(VALU_DEP_3)
	v_cndmask_b32_e64 v35, v35, v47, s3
	v_cmp_lt_f32_e64 s3, 0, v50
	s_delay_alu instid0(VALU_DEP_1) | instskip(NEXT) | instid1(VALU_DEP_1)
	v_cndmask_b32_e64 v35, v35, v48, s3
	v_mul_f32_e32 v47, 0x37800000, v35
	s_delay_alu instid0(VALU_DEP_1) | instskip(SKIP_1) | instid1(VALU_DEP_2)
	v_cndmask_b32_e32 v35, v35, v47, vcc_lo
	v_cmp_class_f32_e64 vcc_lo, v33, 0x260
	v_cndmask_b32_e32 v33, v35, v33, vcc_lo
	s_delay_alu instid0(VALU_DEP_1)
	v_mul_f32_e64 v35, |v1|, v33
.LBB6_110:                              ;   in Loop: Header=BB6_62 Depth=3
	s_or_b32 exec_lo, exec_lo, s51
                                        ; implicit-def: $vgpr33
.LBB6_111:                              ;   in Loop: Header=BB6_62 Depth=3
	s_and_not1_saveexec_b32 s4, s4
	s_cbranch_execz .LBB6_113
; %bb.112:                              ;   in Loop: Header=BB6_62 Depth=3
	v_and_b32_e32 v35, 0x7fffffff, v34
	s_delay_alu instid0(VALU_DEP_1) | instskip(NEXT) | instid1(VALU_DEP_1)
	v_div_scale_f32 v47, null, v35, v35, v33
	v_rcp_f32_e32 v48, v47
	s_waitcnt_depctr 0xfff
	v_fma_f32 v49, -v47, v48, 1.0
	s_delay_alu instid0(VALU_DEP_1) | instskip(SKIP_1) | instid1(VALU_DEP_1)
	v_fmac_f32_e32 v48, v49, v48
	v_div_scale_f32 v33, vcc_lo, v33, v35, v33
	v_mul_f32_e32 v35, v33, v48
	s_delay_alu instid0(VALU_DEP_1) | instskip(NEXT) | instid1(VALU_DEP_1)
	v_fma_f32 v49, -v47, v35, v33
	v_fmac_f32_e32 v35, v49, v48
	s_delay_alu instid0(VALU_DEP_1) | instskip(NEXT) | instid1(VALU_DEP_1)
	v_fma_f32 v33, -v47, v35, v33
	v_div_fmas_f32 v33, v33, v48, v35
	s_delay_alu instid0(VALU_DEP_1) | instskip(NEXT) | instid1(VALU_DEP_1)
	v_div_fixup_f32 v33, v33, |v34|, |v1|
	v_fma_f32 v33, v33, v33, 1.0
	s_delay_alu instid0(VALU_DEP_1) | instskip(SKIP_1) | instid1(VALU_DEP_2)
	v_mul_f32_e32 v35, 0x4f800000, v33
	v_cmp_gt_f32_e32 vcc_lo, 0xf800000, v33
	v_cndmask_b32_e32 v33, v33, v35, vcc_lo
	s_delay_alu instid0(VALU_DEP_1) | instskip(SKIP_3) | instid1(VALU_DEP_2)
	v_sqrt_f32_e32 v35, v33
	s_waitcnt_depctr 0xfff
	v_add_nc_u32_e32 v47, -1, v35
	v_add_nc_u32_e32 v48, 1, v35
	v_fma_f32 v49, -v47, v35, v33
	s_delay_alu instid0(VALU_DEP_2) | instskip(NEXT) | instid1(VALU_DEP_2)
	v_fma_f32 v50, -v48, v35, v33
	v_cmp_ge_f32_e64 s3, 0, v49
	s_delay_alu instid0(VALU_DEP_1) | instskip(NEXT) | instid1(VALU_DEP_3)
	v_cndmask_b32_e64 v35, v35, v47, s3
	v_cmp_lt_f32_e64 s3, 0, v50
	s_delay_alu instid0(VALU_DEP_1) | instskip(NEXT) | instid1(VALU_DEP_1)
	v_cndmask_b32_e64 v35, v35, v48, s3
	v_mul_f32_e32 v47, 0x37800000, v35
	s_delay_alu instid0(VALU_DEP_1) | instskip(SKIP_1) | instid1(VALU_DEP_2)
	v_cndmask_b32_e32 v35, v35, v47, vcc_lo
	v_cmp_class_f32_e64 vcc_lo, v33, 0x260
	v_cndmask_b32_e32 v33, v35, v33, vcc_lo
	s_delay_alu instid0(VALU_DEP_1)
	v_mul_f32_e64 v35, |v34|, v33
.LBB6_113:                              ;   in Loop: Header=BB6_62 Depth=3
	s_or_b32 exec_lo, exec_lo, s4
	v_cmp_gt_f32_e64 vcc_lo, |v46|, |v32|
	v_add_f32_e32 v48, v46, v32
                                        ; implicit-def: $vgpr33
	s_mov_b32 s3, exec_lo
	v_cndmask_b32_e32 v49, v32, v46, vcc_lo
	v_cndmask_b32_e32 v47, v46, v32, vcc_lo
                                        ; implicit-def: $vgpr46
	s_delay_alu instid0(VALU_DEP_3)
	v_cmpx_ngt_f32_e32 0, v48
	s_xor_b32 s4, exec_lo, s3
	s_cbranch_execz .LBB6_119
; %bb.114:                              ;   in Loop: Header=BB6_62 Depth=3
	s_mov_b32 s51, exec_lo
                                        ; implicit-def: $sgpr3
                                        ; implicit-def: $vgpr33
	v_cmpx_nlt_f32_e32 0, v48
	s_xor_b32 s51, exec_lo, s51
; %bb.115:                              ;   in Loop: Header=BB6_62 Depth=3
	v_mul_f32_e32 v32, 0.5, v35
	v_mul_f32_e32 v33, -0.5, v35
	s_mov_b32 s3, 1
                                        ; implicit-def: $vgpr48
                                        ; implicit-def: $vgpr49
                                        ; implicit-def: $vgpr47
                                        ; implicit-def: $vgpr36
; %bb.116:                              ;   in Loop: Header=BB6_62 Depth=3
	s_or_saveexec_b32 s51, s51
	v_mov_b32_e32 v46, s3
	s_xor_b32 exec_lo, exec_lo, s51
	s_cbranch_execz .LBB6_118
; %bb.117:                              ;   in Loop: Header=BB6_62 Depth=3
	v_add_f32_e32 v32, v48, v35
	v_cvt_f64_f32_e32 v[48:49], v49
	v_cvt_f64_f32_e32 v[52:53], v36
	;; [unrolled: 1-line block ×3, first 2 shown]
	s_delay_alu instid0(VALU_DEP_4) | instskip(NEXT) | instid1(VALU_DEP_1)
	v_mul_f32_e32 v32, 0.5, v32
	v_cvt_f64_f32_e32 v[50:51], v32
	s_delay_alu instid0(VALU_DEP_1) | instskip(SKIP_2) | instid1(VALU_DEP_3)
	v_div_scale_f64 v[54:55], null, v[50:51], v[50:51], v[48:49]
	v_div_scale_f64 v[56:57], null, v[50:51], v[50:51], v[52:53]
	v_div_scale_f64 v[66:67], vcc_lo, v[48:49], v[50:51], v[48:49]
	v_rcp_f64_e32 v[58:59], v[54:55]
	s_delay_alu instid0(VALU_DEP_2) | instskip(SKIP_3) | instid1(VALU_DEP_2)
	v_rcp_f64_e32 v[60:61], v[56:57]
	s_waitcnt_depctr 0xfff
	v_fma_f64 v[62:63], -v[54:55], v[58:59], 1.0
	v_fma_f64 v[64:65], -v[56:57], v[60:61], 1.0
	v_fma_f64 v[58:59], v[58:59], v[62:63], v[58:59]
	s_delay_alu instid0(VALU_DEP_2) | instskip(NEXT) | instid1(VALU_DEP_2)
	v_fma_f64 v[60:61], v[60:61], v[64:65], v[60:61]
	v_fma_f64 v[62:63], -v[54:55], v[58:59], 1.0
	s_delay_alu instid0(VALU_DEP_2) | instskip(NEXT) | instid1(VALU_DEP_2)
	v_fma_f64 v[64:65], -v[56:57], v[60:61], 1.0
	v_fma_f64 v[58:59], v[58:59], v[62:63], v[58:59]
	v_div_scale_f64 v[62:63], s3, v[52:53], v[50:51], v[52:53]
	s_delay_alu instid0(VALU_DEP_3) | instskip(NEXT) | instid1(VALU_DEP_3)
	v_fma_f64 v[60:61], v[60:61], v[64:65], v[60:61]
	v_mul_f64 v[64:65], v[66:67], v[58:59]
	s_delay_alu instid0(VALU_DEP_2) | instskip(NEXT) | instid1(VALU_DEP_2)
	v_mul_f64 v[68:69], v[62:63], v[60:61]
	v_fma_f64 v[54:55], -v[54:55], v[64:65], v[66:67]
	s_delay_alu instid0(VALU_DEP_2) | instskip(NEXT) | instid1(VALU_DEP_2)
	v_fma_f64 v[56:57], -v[56:57], v[68:69], v[62:63]
	v_div_fmas_f64 v[54:55], v[54:55], v[58:59], v[64:65]
	s_mov_b32 vcc_lo, s3
	s_delay_alu instid0(VALU_DEP_2) | instskip(NEXT) | instid1(VALU_DEP_2)
	v_div_fmas_f64 v[56:57], v[56:57], v[60:61], v[68:69]
	v_div_fixup_f64 v[48:49], v[54:55], v[50:51], v[48:49]
	s_delay_alu instid0(VALU_DEP_2) | instskip(NEXT) | instid1(VALU_DEP_1)
	v_div_fixup_f64 v[56:57], v[56:57], v[50:51], v[52:53]
	v_mul_f64 v[50:51], v[56:57], v[52:53]
	s_delay_alu instid0(VALU_DEP_1) | instskip(NEXT) | instid1(VALU_DEP_1)
	v_fma_f64 v[46:47], v[48:49], v[46:47], -v[50:51]
	v_cvt_f32_f64_e32 v33, v[46:47]
	v_mov_b32_e32 v46, 1
.LBB6_118:                              ;   in Loop: Header=BB6_62 Depth=3
	s_or_b32 exec_lo, exec_lo, s51
                                        ; implicit-def: $vgpr48
                                        ; implicit-def: $vgpr49
                                        ; implicit-def: $vgpr47
                                        ; implicit-def: $vgpr36
.LBB6_119:                              ;   in Loop: Header=BB6_62 Depth=3
	s_and_not1_saveexec_b32 s4, s4
	s_cbranch_execz .LBB6_121
; %bb.120:                              ;   in Loop: Header=BB6_62 Depth=3
	v_sub_f32_e32 v32, v48, v35
	v_cvt_f64_f32_e32 v[48:49], v49
	v_cvt_f64_f32_e32 v[52:53], v36
	;; [unrolled: 1-line block ×3, first 2 shown]
	s_delay_alu instid0(VALU_DEP_4) | instskip(NEXT) | instid1(VALU_DEP_1)
	v_mul_f32_e32 v32, 0.5, v32
	v_cvt_f64_f32_e32 v[50:51], v32
	s_delay_alu instid0(VALU_DEP_1) | instskip(SKIP_2) | instid1(VALU_DEP_3)
	v_div_scale_f64 v[54:55], null, v[50:51], v[50:51], v[48:49]
	v_div_scale_f64 v[56:57], null, v[50:51], v[50:51], v[52:53]
	v_div_scale_f64 v[66:67], vcc_lo, v[48:49], v[50:51], v[48:49]
	v_rcp_f64_e32 v[58:59], v[54:55]
	s_delay_alu instid0(VALU_DEP_2) | instskip(SKIP_3) | instid1(VALU_DEP_2)
	v_rcp_f64_e32 v[60:61], v[56:57]
	s_waitcnt_depctr 0xfff
	v_fma_f64 v[62:63], -v[54:55], v[58:59], 1.0
	v_fma_f64 v[64:65], -v[56:57], v[60:61], 1.0
	v_fma_f64 v[58:59], v[58:59], v[62:63], v[58:59]
	s_delay_alu instid0(VALU_DEP_2) | instskip(NEXT) | instid1(VALU_DEP_2)
	v_fma_f64 v[60:61], v[60:61], v[64:65], v[60:61]
	v_fma_f64 v[62:63], -v[54:55], v[58:59], 1.0
	s_delay_alu instid0(VALU_DEP_2) | instskip(NEXT) | instid1(VALU_DEP_2)
	v_fma_f64 v[64:65], -v[56:57], v[60:61], 1.0
	v_fma_f64 v[58:59], v[58:59], v[62:63], v[58:59]
	v_div_scale_f64 v[62:63], s3, v[52:53], v[50:51], v[52:53]
	s_delay_alu instid0(VALU_DEP_3) | instskip(NEXT) | instid1(VALU_DEP_3)
	v_fma_f64 v[60:61], v[60:61], v[64:65], v[60:61]
	v_mul_f64 v[64:65], v[66:67], v[58:59]
	s_delay_alu instid0(VALU_DEP_2) | instskip(NEXT) | instid1(VALU_DEP_2)
	v_mul_f64 v[68:69], v[62:63], v[60:61]
	v_fma_f64 v[54:55], -v[54:55], v[64:65], v[66:67]
	s_delay_alu instid0(VALU_DEP_2) | instskip(NEXT) | instid1(VALU_DEP_2)
	v_fma_f64 v[56:57], -v[56:57], v[68:69], v[62:63]
	v_div_fmas_f64 v[54:55], v[54:55], v[58:59], v[64:65]
	s_mov_b32 vcc_lo, s3
	s_delay_alu instid0(VALU_DEP_2) | instskip(NEXT) | instid1(VALU_DEP_2)
	v_div_fmas_f64 v[56:57], v[56:57], v[60:61], v[68:69]
	v_div_fixup_f64 v[48:49], v[54:55], v[50:51], v[48:49]
	s_delay_alu instid0(VALU_DEP_2) | instskip(NEXT) | instid1(VALU_DEP_1)
	v_div_fixup_f64 v[56:57], v[56:57], v[50:51], v[52:53]
	v_mul_f64 v[50:51], v[56:57], v[52:53]
	s_delay_alu instid0(VALU_DEP_1) | instskip(NEXT) | instid1(VALU_DEP_1)
	v_fma_f64 v[46:47], v[48:49], v[46:47], -v[50:51]
	v_cvt_f32_f64_e32 v33, v[46:47]
	v_mov_b32_e32 v46, -1
.LBB6_121:                              ;   in Loop: Header=BB6_62 Depth=3
	s_or_b32 exec_lo, exec_lo, s4
	v_cmp_nle_f32_e64 s3, 0, v34
	s_mov_b32 s51, exec_lo
                                        ; implicit-def: $vgpr36
	s_delay_alu instid0(VALU_DEP_1) | instskip(NEXT) | instid1(VALU_DEP_1)
	v_cndmask_b32_e64 v35, v35, -v35, s3
	v_add_f32_e32 v34, v34, v35
                                        ; implicit-def: $vgpr35
	s_delay_alu instid0(VALU_DEP_1)
	v_cmpx_ngt_f32_e64 |v34|, |v1|
	s_xor_b32 s51, exec_lo, s51
	s_cbranch_execz .LBB6_125
; %bb.122:                              ;   in Loop: Header=BB6_62 Depth=3
	v_dual_mov_b32 v35, 1.0 :: v_dual_mov_b32 v36, 0
	s_mov_b32 s52, exec_lo
	v_cmpx_neq_f32_e32 0, v1
	s_cbranch_execz .LBB6_124
; %bb.123:                              ;   in Loop: Header=BB6_62 Depth=3
	v_div_scale_f32 v35, null, v1, v1, -v34
	v_div_scale_f32 v48, vcc_lo, -v34, v1, -v34
	s_delay_alu instid0(VALU_DEP_2) | instskip(SKIP_2) | instid1(VALU_DEP_1)
	v_rcp_f32_e32 v36, v35
	s_waitcnt_depctr 0xfff
	v_fma_f32 v47, -v35, v36, 1.0
	v_fmac_f32_e32 v36, v47, v36
	s_delay_alu instid0(VALU_DEP_1) | instskip(NEXT) | instid1(VALU_DEP_1)
	v_mul_f32_e32 v47, v48, v36
	v_fma_f32 v49, -v35, v47, v48
	s_delay_alu instid0(VALU_DEP_1) | instskip(NEXT) | instid1(VALU_DEP_1)
	v_fmac_f32_e32 v47, v49, v36
	v_fma_f32 v35, -v35, v47, v48
	s_delay_alu instid0(VALU_DEP_1) | instskip(NEXT) | instid1(VALU_DEP_1)
	v_div_fmas_f32 v35, v35, v36, v47
	v_div_fixup_f32 v1, v35, v1, -v34
	s_delay_alu instid0(VALU_DEP_1) | instskip(NEXT) | instid1(VALU_DEP_1)
	v_fma_f32 v34, v1, v1, 1.0
	v_mul_f32_e32 v35, 0x4f800000, v34
	v_cmp_gt_f32_e32 vcc_lo, 0xf800000, v34
	s_delay_alu instid0(VALU_DEP_2) | instskip(NEXT) | instid1(VALU_DEP_1)
	v_cndmask_b32_e32 v34, v34, v35, vcc_lo
	v_sqrt_f32_e32 v35, v34
	s_waitcnt_depctr 0xfff
	v_add_nc_u32_e32 v36, -1, v35
	v_add_nc_u32_e32 v47, 1, v35
	s_delay_alu instid0(VALU_DEP_2) | instskip(NEXT) | instid1(VALU_DEP_2)
	v_fma_f32 v48, -v36, v35, v34
	v_fma_f32 v49, -v47, v35, v34
	s_delay_alu instid0(VALU_DEP_2) | instskip(NEXT) | instid1(VALU_DEP_1)
	v_cmp_ge_f32_e64 s4, 0, v48
	v_cndmask_b32_e64 v35, v35, v36, s4
	s_delay_alu instid0(VALU_DEP_3) | instskip(NEXT) | instid1(VALU_DEP_1)
	v_cmp_lt_f32_e64 s4, 0, v49
	v_cndmask_b32_e64 v35, v35, v47, s4
	s_delay_alu instid0(VALU_DEP_1) | instskip(NEXT) | instid1(VALU_DEP_1)
	v_mul_f32_e32 v36, 0x37800000, v35
	v_cndmask_b32_e32 v35, v35, v36, vcc_lo
	v_cmp_class_f32_e64 vcc_lo, v34, 0x260
	s_delay_alu instid0(VALU_DEP_2) | instskip(NEXT) | instid1(VALU_DEP_1)
	v_cndmask_b32_e32 v34, v35, v34, vcc_lo
	v_div_scale_f32 v35, null, v34, v34, 1.0
	s_delay_alu instid0(VALU_DEP_1) | instskip(SKIP_2) | instid1(VALU_DEP_1)
	v_rcp_f32_e32 v36, v35
	s_waitcnt_depctr 0xfff
	v_fma_f32 v47, -v35, v36, 1.0
	v_fmac_f32_e32 v36, v47, v36
	v_div_scale_f32 v47, vcc_lo, 1.0, v34, 1.0
	s_delay_alu instid0(VALU_DEP_1) | instskip(NEXT) | instid1(VALU_DEP_1)
	v_mul_f32_e32 v48, v47, v36
	v_fma_f32 v49, -v35, v48, v47
	s_delay_alu instid0(VALU_DEP_1) | instskip(NEXT) | instid1(VALU_DEP_1)
	v_fmac_f32_e32 v48, v49, v36
	v_fma_f32 v35, -v35, v48, v47
	s_delay_alu instid0(VALU_DEP_1) | instskip(NEXT) | instid1(VALU_DEP_1)
	v_div_fmas_f32 v35, v35, v36, v48
	v_div_fixup_f32 v35, v35, v34, 1.0
	s_delay_alu instid0(VALU_DEP_1)
	v_mul_f32_e32 v36, v1, v35
.LBB6_124:                              ;   in Loop: Header=BB6_62 Depth=3
	s_or_b32 exec_lo, exec_lo, s52
                                        ; implicit-def: $vgpr34
                                        ; implicit-def: $vgpr1
.LBB6_125:                              ;   in Loop: Header=BB6_62 Depth=3
	s_and_not1_saveexec_b32 s51, s51
	s_cbranch_execz .LBB6_127
; %bb.126:                              ;   in Loop: Header=BB6_62 Depth=3
	v_div_scale_f32 v35, null, v34, v34, -v1
	v_div_scale_f32 v48, vcc_lo, -v1, v34, -v1
	s_delay_alu instid0(VALU_DEP_2) | instskip(SKIP_2) | instid1(VALU_DEP_1)
	v_rcp_f32_e32 v36, v35
	s_waitcnt_depctr 0xfff
	v_fma_f32 v47, -v35, v36, 1.0
	v_fmac_f32_e32 v36, v47, v36
	s_delay_alu instid0(VALU_DEP_1) | instskip(NEXT) | instid1(VALU_DEP_1)
	v_mul_f32_e32 v47, v48, v36
	v_fma_f32 v49, -v35, v47, v48
	s_delay_alu instid0(VALU_DEP_1) | instskip(NEXT) | instid1(VALU_DEP_1)
	v_fmac_f32_e32 v47, v49, v36
	v_fma_f32 v35, -v35, v47, v48
	s_delay_alu instid0(VALU_DEP_1) | instskip(NEXT) | instid1(VALU_DEP_1)
	v_div_fmas_f32 v35, v35, v36, v47
	v_div_fixup_f32 v1, v35, v34, -v1
	s_delay_alu instid0(VALU_DEP_1) | instskip(NEXT) | instid1(VALU_DEP_1)
	v_fma_f32 v34, v1, v1, 1.0
	v_mul_f32_e32 v35, 0x4f800000, v34
	v_cmp_gt_f32_e32 vcc_lo, 0xf800000, v34
	s_delay_alu instid0(VALU_DEP_2) | instskip(NEXT) | instid1(VALU_DEP_1)
	v_cndmask_b32_e32 v34, v34, v35, vcc_lo
	v_sqrt_f32_e32 v35, v34
	s_waitcnt_depctr 0xfff
	v_add_nc_u32_e32 v36, -1, v35
	v_add_nc_u32_e32 v47, 1, v35
	s_delay_alu instid0(VALU_DEP_2) | instskip(NEXT) | instid1(VALU_DEP_2)
	v_fma_f32 v48, -v36, v35, v34
	v_fma_f32 v49, -v47, v35, v34
	s_delay_alu instid0(VALU_DEP_2) | instskip(NEXT) | instid1(VALU_DEP_1)
	v_cmp_ge_f32_e64 s4, 0, v48
	v_cndmask_b32_e64 v35, v35, v36, s4
	s_delay_alu instid0(VALU_DEP_3) | instskip(NEXT) | instid1(VALU_DEP_1)
	v_cmp_lt_f32_e64 s4, 0, v49
	v_cndmask_b32_e64 v35, v35, v47, s4
	s_delay_alu instid0(VALU_DEP_1) | instskip(NEXT) | instid1(VALU_DEP_1)
	v_mul_f32_e32 v36, 0x37800000, v35
	v_cndmask_b32_e32 v35, v35, v36, vcc_lo
	v_cmp_class_f32_e64 vcc_lo, v34, 0x260
	s_delay_alu instid0(VALU_DEP_2) | instskip(NEXT) | instid1(VALU_DEP_1)
	v_cndmask_b32_e32 v34, v35, v34, vcc_lo
	v_div_scale_f32 v35, null, v34, v34, 1.0
	s_delay_alu instid0(VALU_DEP_1) | instskip(SKIP_2) | instid1(VALU_DEP_1)
	v_rcp_f32_e32 v36, v35
	s_waitcnt_depctr 0xfff
	v_fma_f32 v47, -v35, v36, 1.0
	v_fmac_f32_e32 v36, v47, v36
	v_div_scale_f32 v47, vcc_lo, 1.0, v34, 1.0
	s_delay_alu instid0(VALU_DEP_1) | instskip(NEXT) | instid1(VALU_DEP_1)
	v_mul_f32_e32 v48, v47, v36
	v_fma_f32 v49, -v35, v48, v47
	s_delay_alu instid0(VALU_DEP_1) | instskip(NEXT) | instid1(VALU_DEP_1)
	v_fmac_f32_e32 v48, v49, v36
	v_fma_f32 v35, -v35, v48, v47
	s_delay_alu instid0(VALU_DEP_1) | instskip(NEXT) | instid1(VALU_DEP_1)
	v_div_fmas_f32 v35, v35, v36, v48
	v_div_fixup_f32 v36, v35, v34, 1.0
	s_delay_alu instid0(VALU_DEP_1)
	v_mul_f32_e32 v35, v1, v36
.LBB6_127:                              ;   in Loop: Header=BB6_62 Depth=3
	s_or_b32 exec_lo, exec_lo, s51
	v_cndmask_b32_e64 v1, 1, -1, s3
	v_add_co_u32 v30, s3, s38, v30
	s_delay_alu instid0(VALU_DEP_1) | instskip(NEXT) | instid1(VALU_DEP_3)
	v_add_co_ci_u32_e64 v31, s3, s39, v31, s3
	v_cmp_eq_u32_e32 vcc_lo, v46, v1
	v_add_nc_u32_e32 v25, 2, v25
	v_cndmask_b32_e32 v1, v36, v35, vcc_lo
	v_cndmask_b32_e64 v36, v35, -v36, vcc_lo
	v_add_co_u32 v34, vcc_lo, v30, s42
	v_add_co_ci_u32_e32 v35, vcc_lo, s43, v31, vcc_lo
	s_clause 0x1
	global_store_b32 v[30:31], v36, off
	global_store_b32 v[34:35], v1, off offset:-4
	global_store_b64 v[26:27], v[32:33], off
	global_store_b32 v[28:29], v2, off
	ds_store_b32 v2, v25
	s_or_b32 exec_lo, exec_lo, s50
                                        ; implicit-def: $vgpr1
.LBB6_128:                              ;   in Loop: Header=BB6_62 Depth=3
	s_and_not1_saveexec_b32 s3, s58
	s_cbranch_execz .LBB6_130
.LBB6_129:                              ;   in Loop: Header=BB6_62 Depth=3
	ds_store_b32 v2, v1
.LBB6_130:                              ;   in Loop: Header=BB6_62 Depth=3
	s_or_b32 exec_lo, exec_lo, s3
.LBB6_131:                              ;   in Loop: Header=BB6_62 Depth=3
	s_delay_alu instid0(SALU_CYCLE_1)
	s_or_b32 exec_lo, exec_lo, s19
	s_waitcnt lgkmcnt(0)
	s_waitcnt_vscnt null, 0x0
	s_barrier
	buffer_gl0_inv
	ds_load_b64 v[25:26], v2
	s_waitcnt lgkmcnt(0)
	v_readfirstlane_b32 s3, v26
	s_delay_alu instid0(VALU_DEP_1)
	v_cmp_eq_u32_e32 vcc_lo, s3, v25
	v_mov_b32_e32 v25, s3
	s_cbranch_vccnz .LBB6_61
; %bb.132:                              ;   in Loop: Header=BB6_62 Depth=3
	s_and_saveexec_b32 s19, s1
	s_cbranch_execz .LBB6_60
; %bb.133:                              ;   in Loop: Header=BB6_62 Depth=3
	ds_load_b32 v25, v2 offset:16
	s_waitcnt lgkmcnt(0)
	v_readfirstlane_b32 s4, v25
	v_mul_lo_u32 v27, v25, s27
	v_ashrrev_i32_e32 v26, 31, v25
	s_delay_alu instid0(VALU_DEP_3) | instskip(NEXT) | instid1(VALU_DEP_1)
	s_sub_i32 s50, s3, s4
	v_lshlrev_b64 v[25:26], 2, v[25:26]
	s_mul_hi_i32 s53, s50, s10
	s_mul_i32 s52, s50, s10
	s_delay_alu instid0(VALU_DEP_3)
	v_ashrrev_i32_e32 v28, 31, v27
	s_lshl_b64 s[52:53], s[52:53], 2
	s_cmp_gt_i32 s50, 0
	s_cselect_b32 s51, -1, 0
	s_add_i32 s4, s50, -1
	v_lshlrev_b64 v[27:28], 2, v[27:28]
	s_lshl_b64 s[54:55], s[4:5], 2
	s_mul_i32 s3, s9, s4
	v_add_co_u32 v1, vcc_lo, v25, s54
	v_add_co_ci_u32_e32 v26, vcc_lo, s55, v26, vcc_lo
	s_delay_alu instid0(VALU_DEP_3)
	v_add_co_u32 v35, vcc_lo, s85, v27
	s_mul_hi_u32 s56, s8, s4
	s_mul_i32 s4, s8, s4
	v_add_co_ci_u32_e32 v36, vcc_lo, s86, v28, vcc_lo
	s_add_i32 s56, s56, s3
	v_add_co_u32 v27, vcc_lo, s4, v27
	v_add_co_ci_u32_e32 v28, vcc_lo, s56, v28, vcc_lo
	v_add_co_u32 v25, vcc_lo, s96, v1
	v_add_co_ci_u32_e32 v26, vcc_lo, s97, v26, vcc_lo
	;; [unrolled: 2-line block ×4, first 2 shown]
	v_mov_b32_e32 v1, v0
	s_mov_b32 s4, 0
	s_branch .LBB6_135
.LBB6_134:                              ;   in Loop: Header=BB6_135 Depth=4
	v_add_nc_u32_e32 v1, s13, v1
	v_add_co_u32 v27, s3, v27, s72
	s_delay_alu instid0(VALU_DEP_1) | instskip(NEXT) | instid1(VALU_DEP_3)
	v_add_co_ci_u32_e64 v28, s3, 0, v28, s3
	v_cmp_le_i32_e32 vcc_lo, s22, v1
	s_waitcnt vmcnt(0) lgkmcnt(0)
	flat_store_b32 v[29:30], v48
	s_or_b32 s4, vcc_lo, s4
	s_delay_alu instid0(SALU_CYCLE_1)
	s_and_not1_b32 exec_lo, exec_lo, s4
	s_cbranch_execz .LBB6_60
.LBB6_135:                              ;   Parent Loop BB6_7 Depth=1
                                        ;     Parent Loop BB6_40 Depth=2
                                        ;       Parent Loop BB6_62 Depth=3
                                        ; =>      This Loop Header: Depth=4
                                        ;           Child Loop BB6_136 Depth 5
	s_delay_alu instid0(VALU_DEP_1) | instskip(SKIP_2) | instid1(VALU_DEP_2)
	v_lshlrev_b64 v[29:30], 2, v[1:2]
	v_dual_mov_b32 v34, v26 :: v_dual_mov_b32 v33, v25
	s_mov_b32 s3, s50
	v_add_co_u32 v31, vcc_lo, v46, v29
	s_delay_alu instid0(VALU_DEP_3)
	v_add_co_ci_u32_e32 v32, vcc_lo, v47, v30, vcc_lo
	v_add_co_u32 v29, vcc_lo, v35, v29
	v_add_co_ci_u32_e32 v30, vcc_lo, v36, v30, vcc_lo
	flat_load_b32 v48, v[31:32]
	v_dual_mov_b32 v32, v28 :: v_dual_mov_b32 v31, v27
	s_and_not1_b32 vcc_lo, exec_lo, s51
	s_cbranch_vccnz .LBB6_134
	.p2align	6
.LBB6_136:                              ;   Parent Loop BB6_7 Depth=1
                                        ;     Parent Loop BB6_40 Depth=2
                                        ;       Parent Loop BB6_62 Depth=3
                                        ;         Parent Loop BB6_135 Depth=4
                                        ; =>        This Inner Loop Header: Depth=5
	v_add_co_u32 v49, vcc_lo, v33, s23
	v_add_co_ci_u32_e32 v50, vcc_lo, s95, v34, vcc_lo
	s_mul_i32 s53, s3, s11
	s_mul_hi_u32 s55, s3, s10
	flat_load_b32 v51, v[31:32]
	s_clause 0x1
	global_load_b32 v52, v[49:50], off
	global_load_b32 v53, v[33:34], off
	v_add_co_u32 v33, vcc_lo, v33, -4
	s_mul_i32 s52, s3, s10
	v_add_co_ci_u32_e32 v34, vcc_lo, -1, v34, vcc_lo
	s_add_i32 s53, s55, s53
	s_waitcnt vmcnt(3) lgkmcnt(1)
	v_mov_b32_e32 v54, v48
	v_add_co_u32 v31, vcc_lo, v31, s77
	s_lshl_b64 s[52:53], s[52:53], 2
	v_add_co_ci_u32_e32 v32, vcc_lo, s78, v32, vcc_lo
	v_add_co_u32 v49, vcc_lo, v29, s52
	v_add_co_ci_u32_e32 v50, vcc_lo, s53, v30, vcc_lo
	s_add_i32 s54, s3, -1
	s_delay_alu instid0(SALU_CYCLE_1) | instskip(SKIP_3) | instid1(VALU_DEP_1)
	s_cmp_eq_u32 s54, 0
	s_mov_b32 s3, s54
	s_waitcnt vmcnt(0) lgkmcnt(0)
	v_mul_f32_e32 v48, v53, v51
	v_dual_mul_f32 v51, v52, v51 :: v_dual_fmac_f32 v48, v54, v52
	s_delay_alu instid0(VALU_DEP_1)
	v_fma_f32 v51, v54, v53, -v51
	flat_store_b32 v[49:50], v51
	s_cbranch_scc0 .LBB6_136
	s_branch .LBB6_134
.LBB6_137:                              ;   in Loop: Header=BB6_62 Depth=3
	s_or_b32 exec_lo, exec_lo, s50
                                        ; implicit-def: $vgpr1
	s_and_not1_saveexec_b32 s3, s58
	s_cbranch_execnz .LBB6_129
	s_branch .LBB6_130
.LBB6_138:                              ;   in Loop: Header=BB6_40 Depth=2
	v_dual_mov_b32 v24, v16 :: v_dual_mov_b32 v23, v15
	v_dual_mov_b32 v22, v14 :: v_dual_mov_b32 v21, v13
	v_mov_b32_e32 v18, v45
	s_branch .LBB6_235
.LBB6_139:                              ;   in Loop: Header=BB6_40 Depth=2
                                        ; implicit-def: $vgpr23_vgpr24
                                        ; implicit-def: $vgpr21_vgpr22
                                        ; implicit-def: $vgpr18
	s_branch .LBB6_142
.LBB6_140:                              ;   in Loop: Header=BB6_142 Depth=3
	s_or_b32 exec_lo, exec_lo, s4
	s_waitcnt lgkmcnt(0)
	s_waitcnt_vscnt null, 0x0
	s_barrier
	buffer_gl0_inv
	ds_load_b32 v17, v2
.LBB6_141:                              ;   in Loop: Header=BB6_142 Depth=3
	ds_load_2addr_b32 v[19:20], v2 offset0:5 offset1:7
	s_waitcnt lgkmcnt(0)
	v_cmp_ge_i32_e32 vcc_lo, v17, v19
	v_cmp_gt_i32_e64 s2, s15, v20
	s_delay_alu instid0(VALU_DEP_1)
	s_and_b32 s2, vcc_lo, s2
.LBB6_142:                              ;   Parent Loop BB6_7 Depth=1
                                        ;     Parent Loop BB6_40 Depth=2
                                        ; =>    This Loop Header: Depth=3
                                        ;         Child Loop BB6_151 Depth 4
                                        ;         Child Loop BB6_170 Depth 4
	;; [unrolled: 1-line block ×3, first 2 shown]
                                        ;           Child Loop BB6_217 Depth 5
	s_delay_alu instid0(SALU_CYCLE_1)
	s_and_not1_b32 vcc_lo, exec_lo, s2
	s_cbranch_vccnz .LBB6_219
; %bb.143:                              ;   in Loop: Header=BB6_142 Depth=3
	s_and_saveexec_b32 s4, s0
	s_cbranch_execz .LBB6_212
; %bb.144:                              ;   in Loop: Header=BB6_142 Depth=3
	v_cmp_gt_i32_e32 vcc_lo, v17, v19
	s_mov_b32 s2, 0
	s_cbranch_vccnz .LBB6_148
; %bb.145:                              ;   in Loop: Header=BB6_142 Depth=3
	v_ashrrev_i32_e32 v18, 31, v17
	s_mov_b32 s3, -1
	s_delay_alu instid0(VALU_DEP_1)
	v_dual_mov_b32 v23, v18 :: v_dual_mov_b32 v22, v17
	v_mov_b32_e32 v21, v17
	s_cbranch_execz .LBB6_149
; %bb.146:                              ;   in Loop: Header=BB6_142 Depth=3
	s_and_b32 vcc_lo, exec_lo, s3
	s_cbranch_vccz .LBB6_154
.LBB6_147:                              ;   in Loop: Header=BB6_142 Depth=3
	ds_store_2addr_b32 v2, v21, v17 offset0:1 offset1:4
	s_cbranch_execz .LBB6_155
	s_branch .LBB6_156
.LBB6_148:                              ;   in Loop: Header=BB6_142 Depth=3
	s_mov_b32 s3, 0
                                        ; implicit-def: $vgpr22_vgpr23
	v_mov_b32_e32 v21, v17
.LBB6_149:                              ;   in Loop: Header=BB6_142 Depth=3
	v_ashrrev_i32_e32 v18, 31, v17
	v_mov_b32_e32 v1, v17
	s_delay_alu instid0(VALU_DEP_2) | instskip(NEXT) | instid1(VALU_DEP_1)
	v_lshlrev_b64 v[3:4], 2, v[17:18]
	v_add_co_u32 v5, vcc_lo, s98, v3
	s_delay_alu instid0(VALU_DEP_2)
	v_add_co_ci_u32_e32 v6, vcc_lo, s99, v4, vcc_lo
	v_add_co_u32 v21, vcc_lo, s89, v3
	v_add_co_ci_u32_e32 v22, vcc_lo, s90, v4, vcc_lo
	s_branch .LBB6_151
	.p2align	6
.LBB6_150:                              ;   in Loop: Header=BB6_151 Depth=4
	v_add_nc_u32_e32 v1, -1, v42
	v_add_co_u32 v5, vcc_lo, v5, -4
	v_add_co_ci_u32_e32 v6, vcc_lo, -1, v6, vcc_lo
	s_delay_alu instid0(VALU_DEP_3) | instskip(SKIP_2) | instid1(VALU_DEP_2)
	v_cmp_le_i32_e64 s3, v1, v19
	s_mov_b32 s2, 0
	v_dual_mov_b32 v22, v4 :: v_dual_mov_b32 v21, v3
	s_and_not1_b32 vcc_lo, exec_lo, s3
	s_cbranch_vccz .LBB6_153
.LBB6_151:                              ;   Parent Loop BB6_7 Depth=1
                                        ;     Parent Loop BB6_40 Depth=2
                                        ;       Parent Loop BB6_142 Depth=3
                                        ; =>      This Inner Loop Header: Depth=4
	global_load_b64 v[3:4], v[5:6], off
	global_load_b32 v23, v[21:22], off offset:-4
	s_waitcnt vmcnt(1)
	v_dual_mov_b32 v42, v1 :: v_dual_mul_f32 v3, v4, v3
	s_waitcnt vmcnt(0)
	v_mul_f32_e32 v4, v23, v23
	s_delay_alu instid0(VALU_DEP_2) | instskip(NEXT) | instid1(VALU_DEP_1)
	v_mul_f32_e64 v3, v39, |v3|
	v_cmp_le_f32_e64 s2, |v4|, v3
	v_add_co_u32 v3, vcc_lo, v21, -4
	v_add_co_ci_u32_e32 v4, vcc_lo, -1, v22, vcc_lo
	s_delay_alu instid0(VALU_DEP_3)
	s_and_b32 vcc_lo, exec_lo, s2
	s_cbranch_vccz .LBB6_150
; %bb.152:                              ;   in Loop: Header=BB6_142 Depth=3
	s_mov_b32 s2, -1
                                        ; implicit-def: $vgpr1
                                        ; implicit-def: $vgpr5_vgpr6
	s_delay_alu instid0(VALU_DEP_1)
	v_dual_mov_b32 v22, v4 :: v_dual_mov_b32 v21, v3
.LBB6_153:                              ;   in Loop: Header=BB6_142 Depth=3
	v_mov_b32_e32 v23, v18
	v_dual_mov_b32 v5, v17 :: v_dual_mov_b32 v6, v18
	v_dual_mov_b32 v21, v19 :: v_dual_mov_b32 v22, v17
	s_xor_b32 s3, s2, -1
	s_mov_b32 s2, -1
	s_and_b32 vcc_lo, exec_lo, s3
	s_cbranch_vccnz .LBB6_147
.LBB6_154:                              ;   in Loop: Header=BB6_142 Depth=3
                                        ; implicit-def: $vgpr21
                                        ; implicit-def: $vgpr22_vgpr23
	s_and_not1_b32 vcc_lo, exec_lo, s2
	s_cbranch_vccnz .LBB6_156
.LBB6_155:                              ;   in Loop: Header=BB6_142 Depth=3
	v_dual_mov_b32 v23, v6 :: v_dual_mov_b32 v22, v5
	v_mov_b32_e32 v21, v42
	ds_store_2addr_b32 v2, v42, v17 offset0:1 offset1:4
	global_store_b32 v[3:4], v2, off
.LBB6_156:                              ;   in Loop: Header=BB6_142 Depth=3
	v_lshlrev_b64 v[23:24], 2, v[22:23]
	v_add_nc_u32_e32 v1, -1, v17
	s_mov_b32 s2, exec_lo
	s_delay_alu instid0(VALU_DEP_2) | instskip(NEXT) | instid1(VALU_DEP_3)
	v_add_co_u32 v18, vcc_lo, s36, v23
	v_add_co_ci_u32_e32 v19, vcc_lo, s37, v24, vcc_lo
	global_load_b32 v29, v[18:19], off
	s_waitcnt vmcnt(0)
	ds_store_b32 v2, v29 offset:8
	v_cmpx_ne_u32_e64 v21, v17
	s_xor_b32 s19, exec_lo, s2
	s_cbranch_execz .LBB6_209
; %bb.157:                              ;   in Loop: Header=BB6_142 Depth=3
	s_mov_b32 s2, exec_lo
	v_cmpx_ne_u32_e64 v21, v1
	s_xor_b32 s3, exec_lo, s2
	s_cbranch_execz .LBB6_185
; %bb.158:                              ;   in Loop: Header=BB6_142 Depth=3
	v_add_co_u32 v23, vcc_lo, s87, v23
	v_add_co_ci_u32_e32 v24, vcc_lo, s88, v24, vcc_lo
	v_ashrrev_i32_e32 v22, 31, v21
	v_add_nc_u32_e32 v20, 1, v20
	global_load_b32 v1, v[18:19], off offset:-4
	global_load_b32 v31, v[23:24], off
	s_mov_b32 s58, exec_lo
	v_lshlrev_b64 v[27:28], 2, v[21:22]
	ds_store_2addr_b32 v2, v2, v20 offset0:2 offset1:7
	v_add_co_u32 v25, vcc_lo, s36, v27
	v_add_co_ci_u32_e32 v26, vcc_lo, s37, v28, vcc_lo
	global_load_b32 v30, v[25:26], off
	s_waitcnt vmcnt(1)
	v_dual_sub_f32 v1, v1, v29 :: v_dual_add_f32 v22, v31, v31
	s_delay_alu instid0(VALU_DEP_1) | instskip(SKIP_1) | instid1(VALU_DEP_2)
	v_div_scale_f32 v32, null, v22, v22, v1
	v_div_scale_f32 v35, vcc_lo, v1, v22, v1
	v_rcp_f32_e32 v33, v32
	s_waitcnt_depctr 0xfff
	v_fma_f32 v34, -v32, v33, 1.0
	s_delay_alu instid0(VALU_DEP_1) | instskip(NEXT) | instid1(VALU_DEP_1)
	v_fmac_f32_e32 v33, v34, v33
	v_mul_f32_e32 v34, v35, v33
	s_delay_alu instid0(VALU_DEP_1) | instskip(NEXT) | instid1(VALU_DEP_1)
	v_fma_f32 v36, -v32, v34, v35
	v_fmac_f32_e32 v34, v36, v33
	s_delay_alu instid0(VALU_DEP_1) | instskip(NEXT) | instid1(VALU_DEP_1)
	v_fma_f32 v32, -v32, v34, v35
	v_div_fmas_f32 v32, v32, v33, v34
	s_delay_alu instid0(VALU_DEP_1) | instskip(NEXT) | instid1(VALU_DEP_1)
	v_div_fixup_f32 v1, v32, v22, v1
	v_fma_f32 v22, v1, v1, 1.0
	s_delay_alu instid0(VALU_DEP_1) | instskip(SKIP_1) | instid1(VALU_DEP_2)
	v_mul_f32_e32 v32, 0x4f800000, v22
	v_cmp_gt_f32_e32 vcc_lo, 0xf800000, v22
	v_cndmask_b32_e32 v22, v22, v32, vcc_lo
	s_delay_alu instid0(VALU_DEP_1) | instskip(SKIP_3) | instid1(VALU_DEP_2)
	v_sqrt_f32_e32 v32, v22
	s_waitcnt_depctr 0xfff
	v_add_nc_u32_e32 v33, -1, v32
	v_add_nc_u32_e32 v34, 1, v32
	v_fma_f32 v35, -v33, v32, v22
	s_delay_alu instid0(VALU_DEP_2) | instskip(NEXT) | instid1(VALU_DEP_2)
	v_fma_f32 v36, -v34, v32, v22
	v_cmp_ge_f32_e64 s2, 0, v35
	s_delay_alu instid0(VALU_DEP_1) | instskip(NEXT) | instid1(VALU_DEP_3)
	v_cndmask_b32_e64 v32, v32, v33, s2
	v_cmp_lt_f32_e64 s2, 0, v36
	s_delay_alu instid0(VALU_DEP_1) | instskip(NEXT) | instid1(VALU_DEP_1)
	v_cndmask_b32_e64 v32, v32, v34, s2
	v_mul_f32_e32 v33, 0x37800000, v32
	s_delay_alu instid0(VALU_DEP_1) | instskip(SKIP_1) | instid1(VALU_DEP_2)
	v_cndmask_b32_e32 v32, v32, v33, vcc_lo
	v_cmp_class_f32_e64 vcc_lo, v22, 0x260
	v_cndmask_b32_e32 v22, v32, v22, vcc_lo
	v_cmp_nle_f32_e32 vcc_lo, 0, v1
	s_delay_alu instid0(VALU_DEP_2) | instskip(NEXT) | instid1(VALU_DEP_1)
	v_cndmask_b32_e64 v22, |v22|, -|v22|, vcc_lo
	v_add_f32_e32 v1, v1, v22
	s_delay_alu instid0(VALU_DEP_1) | instskip(SKIP_1) | instid1(VALU_DEP_2)
	v_div_scale_f32 v22, null, v1, v1, v31
	v_div_scale_f32 v34, vcc_lo, v31, v1, v31
	v_rcp_f32_e32 v32, v22
	s_waitcnt_depctr 0xfff
	v_fma_f32 v33, -v22, v32, 1.0
	s_delay_alu instid0(VALU_DEP_1) | instskip(NEXT) | instid1(VALU_DEP_1)
	v_fmac_f32_e32 v32, v33, v32
	v_mul_f32_e32 v33, v34, v32
	s_delay_alu instid0(VALU_DEP_1) | instskip(NEXT) | instid1(VALU_DEP_1)
	v_fma_f32 v35, -v22, v33, v34
	v_fmac_f32_e32 v33, v35, v32
	s_delay_alu instid0(VALU_DEP_1) | instskip(NEXT) | instid1(VALU_DEP_1)
	v_fma_f32 v22, -v22, v33, v34
	v_div_fmas_f32 v22, v22, v32, v33
	s_waitcnt vmcnt(0)
	v_sub_f32_e32 v32, v30, v29
	s_delay_alu instid0(VALU_DEP_2) | instskip(NEXT) | instid1(VALU_DEP_1)
	v_div_fixup_f32 v1, v22, v1, v31
	v_dual_mov_b32 v22, 0 :: v_dual_add_f32 v1, v32, v1
	v_cmpx_lt_i32_e64 v21, v17
	s_cbranch_execz .LBB6_184
; %bb.159:                              ;   in Loop: Header=BB6_142 Depth=3
	v_add_co_u32 v31, vcc_lo, s83, v27
	v_add_co_ci_u32_e32 v32, vcc_lo, s84, v28, vcc_lo
	v_mov_b32_e32 v20, 1.0
	s_mov_b32 s50, exec_lo
	global_load_b32 v31, v[31:32], off
	v_mov_b32_e32 v32, 0
	s_waitcnt vmcnt(0)
	v_cmpx_neq_f32_e32 0, v31
	s_cbranch_execz .LBB6_167
; %bb.160:                              ;   in Loop: Header=BB6_142 Depth=3
	v_mov_b32_e32 v32, 1.0
	v_mov_b32_e32 v20, 0
	s_mov_b32 s51, exec_lo
	v_cmpx_neq_f32_e32 0, v1
	s_cbranch_execz .LBB6_166
; %bb.161:                              ;   in Loop: Header=BB6_142 Depth=3
	s_mov_b32 s52, exec_lo
                                        ; implicit-def: $vgpr32
                                        ; implicit-def: $vgpr20
	v_cmpx_ngt_f32_e64 |v31|, |v1|
	s_xor_b32 s52, exec_lo, s52
	s_cbranch_execz .LBB6_163
; %bb.162:                              ;   in Loop: Header=BB6_142 Depth=3
	v_div_scale_f32 v20, null, v1, v1, -v31
	v_div_scale_f32 v32, vcc_lo, -v31, v1, -v31
	s_delay_alu instid0(VALU_DEP_2) | instskip(SKIP_2) | instid1(VALU_DEP_1)
	v_rcp_f32_e32 v22, v20
	s_waitcnt_depctr 0xfff
	v_fma_f32 v29, -v20, v22, 1.0
	v_fmac_f32_e32 v22, v29, v22
	s_delay_alu instid0(VALU_DEP_1) | instskip(NEXT) | instid1(VALU_DEP_1)
	v_mul_f32_e32 v29, v32, v22
	v_fma_f32 v33, -v20, v29, v32
	s_delay_alu instid0(VALU_DEP_1) | instskip(NEXT) | instid1(VALU_DEP_1)
	v_fmac_f32_e32 v29, v33, v22
	v_fma_f32 v20, -v20, v29, v32
	s_delay_alu instid0(VALU_DEP_1) | instskip(NEXT) | instid1(VALU_DEP_1)
	v_div_fmas_f32 v20, v20, v22, v29
	v_div_fixup_f32 v1, v20, v1, -v31
	s_delay_alu instid0(VALU_DEP_1) | instskip(NEXT) | instid1(VALU_DEP_1)
	v_fma_f32 v20, v1, v1, 1.0
	v_mul_f32_e32 v22, 0x4f800000, v20
	v_cmp_gt_f32_e32 vcc_lo, 0xf800000, v20
	s_delay_alu instid0(VALU_DEP_2) | instskip(NEXT) | instid1(VALU_DEP_1)
	v_cndmask_b32_e32 v20, v20, v22, vcc_lo
	v_sqrt_f32_e32 v22, v20
	s_waitcnt_depctr 0xfff
	v_add_nc_u32_e32 v29, -1, v22
	v_add_nc_u32_e32 v32, 1, v22
	s_delay_alu instid0(VALU_DEP_2) | instskip(NEXT) | instid1(VALU_DEP_2)
	v_fma_f32 v33, -v29, v22, v20
	v_fma_f32 v34, -v32, v22, v20
	s_delay_alu instid0(VALU_DEP_2) | instskip(NEXT) | instid1(VALU_DEP_1)
	v_cmp_ge_f32_e64 s2, 0, v33
	v_cndmask_b32_e64 v22, v22, v29, s2
	s_delay_alu instid0(VALU_DEP_3) | instskip(NEXT) | instid1(VALU_DEP_1)
	v_cmp_lt_f32_e64 s2, 0, v34
	v_cndmask_b32_e64 v22, v22, v32, s2
	s_delay_alu instid0(VALU_DEP_1) | instskip(NEXT) | instid1(VALU_DEP_1)
	v_mul_f32_e32 v29, 0x37800000, v22
	v_cndmask_b32_e32 v22, v22, v29, vcc_lo
	v_cmp_class_f32_e64 vcc_lo, v20, 0x260
	s_delay_alu instid0(VALU_DEP_2) | instskip(NEXT) | instid1(VALU_DEP_1)
	v_cndmask_b32_e32 v20, v22, v20, vcc_lo
	v_div_scale_f32 v22, null, v20, v20, 1.0
	s_delay_alu instid0(VALU_DEP_1) | instskip(SKIP_2) | instid1(VALU_DEP_1)
	v_rcp_f32_e32 v29, v22
	s_waitcnt_depctr 0xfff
	v_fma_f32 v32, -v22, v29, 1.0
	v_fmac_f32_e32 v29, v32, v29
	v_div_scale_f32 v32, vcc_lo, 1.0, v20, 1.0
	s_delay_alu instid0(VALU_DEP_1) | instskip(NEXT) | instid1(VALU_DEP_1)
	v_mul_f32_e32 v33, v32, v29
	v_fma_f32 v34, -v22, v33, v32
	s_delay_alu instid0(VALU_DEP_1) | instskip(NEXT) | instid1(VALU_DEP_1)
	v_fmac_f32_e32 v33, v34, v29
	v_fma_f32 v22, -v22, v33, v32
	s_delay_alu instid0(VALU_DEP_1) | instskip(NEXT) | instid1(VALU_DEP_1)
	v_div_fmas_f32 v22, v22, v29, v33
	v_div_fixup_f32 v20, v22, v20, 1.0
	s_delay_alu instid0(VALU_DEP_1)
	v_mul_f32_e32 v32, v1, v20
                                        ; implicit-def: $vgpr1
.LBB6_163:                              ;   in Loop: Header=BB6_142 Depth=3
	s_and_not1_saveexec_b32 s52, s52
	s_cbranch_execz .LBB6_165
; %bb.164:                              ;   in Loop: Header=BB6_142 Depth=3
	v_div_scale_f32 v20, null, v31, v31, -v1
	v_div_scale_f32 v32, vcc_lo, -v1, v31, -v1
	s_delay_alu instid0(VALU_DEP_2) | instskip(SKIP_2) | instid1(VALU_DEP_1)
	v_rcp_f32_e32 v22, v20
	s_waitcnt_depctr 0xfff
	v_fma_f32 v29, -v20, v22, 1.0
	v_fmac_f32_e32 v22, v29, v22
	s_delay_alu instid0(VALU_DEP_1) | instskip(NEXT) | instid1(VALU_DEP_1)
	v_mul_f32_e32 v29, v32, v22
	v_fma_f32 v33, -v20, v29, v32
	s_delay_alu instid0(VALU_DEP_1) | instskip(NEXT) | instid1(VALU_DEP_1)
	v_fmac_f32_e32 v29, v33, v22
	v_fma_f32 v20, -v20, v29, v32
	s_delay_alu instid0(VALU_DEP_1) | instskip(NEXT) | instid1(VALU_DEP_1)
	v_div_fmas_f32 v20, v20, v22, v29
	v_div_fixup_f32 v1, v20, v31, -v1
	s_delay_alu instid0(VALU_DEP_1) | instskip(NEXT) | instid1(VALU_DEP_1)
	v_fma_f32 v20, v1, v1, 1.0
	v_mul_f32_e32 v22, 0x4f800000, v20
	v_cmp_gt_f32_e32 vcc_lo, 0xf800000, v20
	s_delay_alu instid0(VALU_DEP_2) | instskip(NEXT) | instid1(VALU_DEP_1)
	v_cndmask_b32_e32 v20, v20, v22, vcc_lo
	v_sqrt_f32_e32 v22, v20
	s_waitcnt_depctr 0xfff
	v_add_nc_u32_e32 v29, -1, v22
	v_add_nc_u32_e32 v32, 1, v22
	s_delay_alu instid0(VALU_DEP_2) | instskip(NEXT) | instid1(VALU_DEP_2)
	v_fma_f32 v33, -v29, v22, v20
	v_fma_f32 v34, -v32, v22, v20
	s_delay_alu instid0(VALU_DEP_2) | instskip(NEXT) | instid1(VALU_DEP_1)
	v_cmp_ge_f32_e64 s2, 0, v33
	v_cndmask_b32_e64 v22, v22, v29, s2
	s_delay_alu instid0(VALU_DEP_3) | instskip(NEXT) | instid1(VALU_DEP_1)
	v_cmp_lt_f32_e64 s2, 0, v34
	v_cndmask_b32_e64 v22, v22, v32, s2
	s_delay_alu instid0(VALU_DEP_1) | instskip(NEXT) | instid1(VALU_DEP_1)
	v_mul_f32_e32 v29, 0x37800000, v22
	v_cndmask_b32_e32 v22, v22, v29, vcc_lo
	v_cmp_class_f32_e64 vcc_lo, v20, 0x260
	s_delay_alu instid0(VALU_DEP_2) | instskip(NEXT) | instid1(VALU_DEP_1)
	v_cndmask_b32_e32 v20, v22, v20, vcc_lo
	v_div_scale_f32 v22, null, v20, v20, 1.0
	s_delay_alu instid0(VALU_DEP_1) | instskip(SKIP_2) | instid1(VALU_DEP_1)
	v_rcp_f32_e32 v29, v22
	s_waitcnt_depctr 0xfff
	v_fma_f32 v32, -v22, v29, 1.0
	v_fmac_f32_e32 v29, v32, v29
	v_div_scale_f32 v32, vcc_lo, 1.0, v20, 1.0
	s_delay_alu instid0(VALU_DEP_1) | instskip(NEXT) | instid1(VALU_DEP_1)
	v_mul_f32_e32 v33, v32, v29
	v_fma_f32 v34, -v22, v33, v32
	s_delay_alu instid0(VALU_DEP_1) | instskip(NEXT) | instid1(VALU_DEP_1)
	v_fmac_f32_e32 v33, v34, v29
	v_fma_f32 v22, -v22, v33, v32
	s_delay_alu instid0(VALU_DEP_1) | instskip(NEXT) | instid1(VALU_DEP_1)
	v_div_fmas_f32 v22, v22, v29, v33
	v_div_fixup_f32 v32, v22, v20, 1.0
	s_delay_alu instid0(VALU_DEP_1)
	v_mul_f32_e32 v20, v1, v32
.LBB6_165:                              ;   in Loop: Header=BB6_142 Depth=3
	s_or_b32 exec_lo, exec_lo, s52
.LBB6_166:                              ;   in Loop: Header=BB6_142 Depth=3
	s_delay_alu instid0(SALU_CYCLE_1)
	s_or_b32 exec_lo, exec_lo, s51
.LBB6_167:                              ;   in Loop: Header=BB6_142 Depth=3
	s_delay_alu instid0(SALU_CYCLE_1)
	s_or_b32 exec_lo, exec_lo, s50
	global_load_b32 v1, v[25:26], off offset:4
	v_add_co_u32 v27, vcc_lo, s38, v27
	v_add_co_ci_u32_e32 v28, vcc_lo, s39, v28, vcc_lo
	v_xor_b32_e32 v33, 0x80000000, v32
	v_add_nc_u32_e32 v29, 1, v21
	s_delay_alu instid0(VALU_DEP_4) | instskip(NEXT) | instid1(VALU_DEP_4)
	v_add_co_u32 v34, vcc_lo, v27, s42
	v_add_co_ci_u32_e32 v35, vcc_lo, s43, v28, vcc_lo
	s_mov_b32 s59, exec_lo
	s_waitcnt vmcnt(0)
	v_dual_add_f32 v22, v20, v20 :: v_dual_sub_f32 v1, v1, v30
	s_delay_alu instid0(VALU_DEP_1) | instskip(NEXT) | instid1(VALU_DEP_1)
	v_mul_f32_e32 v1, v32, v1
	v_fma_f32 v1, v31, v22, -v1
	s_delay_alu instid0(VALU_DEP_1)
	v_mul_f32_e64 v22, v1, -v32
	v_fma_f32 v30, v1, -v32, v30
	v_fma_f32 v1, v20, v1, -v31
	ds_store_b32 v2, v22 offset:8
	global_store_b32 v[25:26], v30, off
	s_clause 0x1
	global_store_b32 v[27:28], v20, off
	global_store_b32 v[34:35], v33, off offset:-4
	v_cmpx_lt_i32_e64 v29, v17
	s_cbranch_execz .LBB6_183
; %bb.168:                              ;   in Loop: Header=BB6_142 Depth=3
	v_ashrrev_i32_e32 v30, 31, v29
	s_mov_b32 s100, 1
	s_mov_b32 s101, 0
	s_mov_b64 s[50:51], s[36:37]
	s_mov_b64 s[52:53], s[48:49]
	v_lshlrev_b64 v[25:26], 2, v[29:30]
	s_mov_b64 s[54:55], s[46:47]
	s_mov_b64 s[56:57], s[38:39]
	s_branch .LBB6_170
.LBB6_169:                              ;   in Loop: Header=BB6_170 Depth=4
	v_add_co_u32 v27, vcc_lo, s50, v25
	v_add_co_ci_u32_e32 v28, vcc_lo, s51, v26, vcc_lo
	s_add_i32 s100, s100, 1
	v_dual_mul_f32 v1, v20, v29 :: v_dual_add_f32 v36, v31, v31
	global_load_b64 v[34:35], v[27:28], off
	v_add_co_u32 v29, vcc_lo, s56, v25
	v_add_co_ci_u32_e32 v30, vcc_lo, s57, v26, vcc_lo
	s_add_u32 s56, s56, 4
	s_addc_u32 s57, s57, 0
	s_add_u32 s54, s54, 4
	s_addc_u32 s55, s55, 0
	v_xor_b32_e32 v33, 0x80000000, v32
	v_dual_mov_b32 v20, v31 :: v_dual_add_nc_u32 v47, s100, v21
	s_waitcnt vmcnt(0)
	v_sub_f32_e32 v22, v34, v22
	v_add_co_u32 v34, vcc_lo, s52, v25
	s_add_u32 s52, s52, 4
	s_delay_alu instid0(VALU_DEP_2) | instskip(SKIP_3) | instid1(VALU_DEP_3)
	v_sub_f32_e32 v46, v35, v22
	v_add_co_ci_u32_e32 v35, vcc_lo, s53, v26, vcc_lo
	v_cmp_ge_i32_e32 vcc_lo, v47, v17
	s_addc_u32 s53, s53, 0
	v_mul_f32_e32 v46, v32, v46
	s_add_u32 s50, s50, 4
	s_addc_u32 s51, s51, 0
	s_or_b32 s101, vcc_lo, s101
	s_delay_alu instid0(VALU_DEP_1) | instskip(NEXT) | instid1(VALU_DEP_1)
	v_fma_f32 v36, v1, v36, -v46
	v_fma_f32 v46, v36, -v32, v22
	v_mul_f32_e64 v22, v36, -v32
	v_fma_f32 v1, v31, v36, -v1
	global_store_b32 v[27:28], v46, off
	global_store_b32 v[29:30], v31, off
	;; [unrolled: 1-line block ×3, first 2 shown]
	s_and_not1_b32 exec_lo, exec_lo, s101
	s_cbranch_execz .LBB6_182
.LBB6_170:                              ;   Parent Loop BB6_7 Depth=1
                                        ;     Parent Loop BB6_40 Depth=2
                                        ;       Parent Loop BB6_142 Depth=3
                                        ; =>      This Inner Loop Header: Depth=4
	s_delay_alu instid0(VALU_DEP_1) | instskip(NEXT) | instid1(VALU_DEP_2)
	v_add_co_u32 v27, vcc_lo, s54, v25
	v_add_co_ci_u32_e32 v28, vcc_lo, s55, v26, vcc_lo
	v_mov_b32_e32 v32, 0
	s_mov_b32 s102, exec_lo
	v_mov_b32_e32 v31, 1.0
	global_load_b32 v29, v[27:28], off offset:4
	s_waitcnt vmcnt(0)
	v_mul_f32_e32 v30, v33, v29
	s_delay_alu instid0(VALU_DEP_1)
	v_cmpx_neq_f32_e32 0, v30
	s_cbranch_execz .LBB6_180
; %bb.171:                              ;   in Loop: Header=BB6_170 Depth=4
                                        ; implicit-def: $vgpr32
                                        ; implicit-def: $vgpr31
	s_mov_b32 s2, exec_lo
	v_cmpx_neq_f32_e32 0, v1
	s_xor_b32 s103, exec_lo, s2
	s_cbranch_execz .LBB6_177
; %bb.172:                              ;   in Loop: Header=BB6_170 Depth=4
	s_mov_b32 s104, exec_lo
                                        ; implicit-def: $vgpr32
                                        ; implicit-def: $vgpr31
	v_cmpx_ngt_f32_e64 |v30|, |v1|
	s_xor_b32 s104, exec_lo, s104
	s_cbranch_execz .LBB6_174
; %bb.173:                              ;   in Loop: Header=BB6_170 Depth=4
	v_div_scale_f32 v31, null, v1, v1, -v30
	v_div_scale_f32 v34, vcc_lo, -v30, v1, -v30
	s_delay_alu instid0(VALU_DEP_2) | instskip(SKIP_2) | instid1(VALU_DEP_1)
	v_rcp_f32_e32 v32, v31
	s_waitcnt_depctr 0xfff
	v_fma_f32 v33, -v31, v32, 1.0
	v_fmac_f32_e32 v32, v33, v32
	s_delay_alu instid0(VALU_DEP_1) | instskip(NEXT) | instid1(VALU_DEP_1)
	v_mul_f32_e32 v33, v34, v32
	v_fma_f32 v35, -v31, v33, v34
	s_delay_alu instid0(VALU_DEP_1) | instskip(NEXT) | instid1(VALU_DEP_1)
	v_fmac_f32_e32 v33, v35, v32
	v_fma_f32 v31, -v31, v33, v34
	s_delay_alu instid0(VALU_DEP_1) | instskip(NEXT) | instid1(VALU_DEP_1)
	v_div_fmas_f32 v31, v31, v32, v33
	v_div_fixup_f32 v32, v31, v1, -v30
	s_delay_alu instid0(VALU_DEP_1) | instskip(NEXT) | instid1(VALU_DEP_1)
	v_fma_f32 v31, v32, v32, 1.0
	v_mul_f32_e32 v33, 0x4f800000, v31
	v_cmp_gt_f32_e32 vcc_lo, 0xf800000, v31
	s_delay_alu instid0(VALU_DEP_2) | instskip(NEXT) | instid1(VALU_DEP_1)
	v_cndmask_b32_e32 v31, v31, v33, vcc_lo
	v_sqrt_f32_e32 v33, v31
	s_waitcnt_depctr 0xfff
	v_add_nc_u32_e32 v34, -1, v33
	v_add_nc_u32_e32 v35, 1, v33
	s_delay_alu instid0(VALU_DEP_2) | instskip(NEXT) | instid1(VALU_DEP_2)
	v_fma_f32 v36, -v34, v33, v31
	v_fma_f32 v46, -v35, v33, v31
	s_delay_alu instid0(VALU_DEP_2) | instskip(NEXT) | instid1(VALU_DEP_1)
	v_cmp_ge_f32_e64 s2, 0, v36
	v_cndmask_b32_e64 v33, v33, v34, s2
	s_delay_alu instid0(VALU_DEP_3) | instskip(NEXT) | instid1(VALU_DEP_1)
	v_cmp_lt_f32_e64 s2, 0, v46
	v_cndmask_b32_e64 v33, v33, v35, s2
	s_delay_alu instid0(VALU_DEP_1) | instskip(NEXT) | instid1(VALU_DEP_1)
	v_mul_f32_e32 v34, 0x37800000, v33
	v_cndmask_b32_e32 v33, v33, v34, vcc_lo
	v_cmp_class_f32_e64 vcc_lo, v31, 0x260
	s_delay_alu instid0(VALU_DEP_2) | instskip(NEXT) | instid1(VALU_DEP_1)
	v_cndmask_b32_e32 v31, v33, v31, vcc_lo
	v_div_scale_f32 v33, null, v31, v31, 1.0
	s_delay_alu instid0(VALU_DEP_1) | instskip(SKIP_2) | instid1(VALU_DEP_1)
	v_rcp_f32_e32 v34, v33
	s_waitcnt_depctr 0xfff
	v_fma_f32 v35, -v33, v34, 1.0
	v_fmac_f32_e32 v34, v35, v34
	v_div_scale_f32 v35, vcc_lo, 1.0, v31, 1.0
	s_delay_alu instid0(VALU_DEP_1) | instskip(NEXT) | instid1(VALU_DEP_1)
	v_mul_f32_e32 v36, v35, v34
	v_fma_f32 v46, -v33, v36, v35
	s_delay_alu instid0(VALU_DEP_1) | instskip(NEXT) | instid1(VALU_DEP_1)
	v_fmac_f32_e32 v36, v46, v34
	v_fma_f32 v33, -v33, v36, v35
	s_delay_alu instid0(VALU_DEP_1) | instskip(NEXT) | instid1(VALU_DEP_1)
	v_div_fmas_f32 v33, v33, v34, v36
	v_div_fixup_f32 v31, v33, v31, 1.0
	s_delay_alu instid0(VALU_DEP_1)
	v_mul_f32_e32 v32, v32, v31
.LBB6_174:                              ;   in Loop: Header=BB6_170 Depth=4
	s_and_not1_saveexec_b32 s104, s104
	s_cbranch_execz .LBB6_176
; %bb.175:                              ;   in Loop: Header=BB6_170 Depth=4
	v_div_scale_f32 v31, null, v30, v30, -v1
	v_div_scale_f32 v34, vcc_lo, -v1, v30, -v1
	s_delay_alu instid0(VALU_DEP_2) | instskip(SKIP_2) | instid1(VALU_DEP_1)
	v_rcp_f32_e32 v32, v31
	s_waitcnt_depctr 0xfff
	v_fma_f32 v33, -v31, v32, 1.0
	v_fmac_f32_e32 v32, v33, v32
	s_delay_alu instid0(VALU_DEP_1) | instskip(NEXT) | instid1(VALU_DEP_1)
	v_mul_f32_e32 v33, v34, v32
	v_fma_f32 v35, -v31, v33, v34
	s_delay_alu instid0(VALU_DEP_1) | instskip(NEXT) | instid1(VALU_DEP_1)
	v_fmac_f32_e32 v33, v35, v32
	v_fma_f32 v31, -v31, v33, v34
	s_delay_alu instid0(VALU_DEP_1) | instskip(NEXT) | instid1(VALU_DEP_1)
	v_div_fmas_f32 v31, v31, v32, v33
	v_div_fixup_f32 v31, v31, v30, -v1
	s_delay_alu instid0(VALU_DEP_1) | instskip(NEXT) | instid1(VALU_DEP_1)
	v_fma_f32 v32, v31, v31, 1.0
	v_mul_f32_e32 v33, 0x4f800000, v32
	v_cmp_gt_f32_e32 vcc_lo, 0xf800000, v32
	s_delay_alu instid0(VALU_DEP_2) | instskip(NEXT) | instid1(VALU_DEP_1)
	v_cndmask_b32_e32 v32, v32, v33, vcc_lo
	v_sqrt_f32_e32 v33, v32
	s_waitcnt_depctr 0xfff
	v_add_nc_u32_e32 v34, -1, v33
	v_add_nc_u32_e32 v35, 1, v33
	s_delay_alu instid0(VALU_DEP_2) | instskip(NEXT) | instid1(VALU_DEP_2)
	v_fma_f32 v36, -v34, v33, v32
	v_fma_f32 v46, -v35, v33, v32
	s_delay_alu instid0(VALU_DEP_2) | instskip(NEXT) | instid1(VALU_DEP_1)
	v_cmp_ge_f32_e64 s2, 0, v36
	v_cndmask_b32_e64 v33, v33, v34, s2
	s_delay_alu instid0(VALU_DEP_3) | instskip(NEXT) | instid1(VALU_DEP_1)
	v_cmp_lt_f32_e64 s2, 0, v46
	v_cndmask_b32_e64 v33, v33, v35, s2
	s_delay_alu instid0(VALU_DEP_1) | instskip(NEXT) | instid1(VALU_DEP_1)
	v_mul_f32_e32 v34, 0x37800000, v33
	v_cndmask_b32_e32 v33, v33, v34, vcc_lo
	v_cmp_class_f32_e64 vcc_lo, v32, 0x260
	s_delay_alu instid0(VALU_DEP_2) | instskip(NEXT) | instid1(VALU_DEP_1)
	v_cndmask_b32_e32 v32, v33, v32, vcc_lo
	v_div_scale_f32 v33, null, v32, v32, 1.0
	s_delay_alu instid0(VALU_DEP_1) | instskip(SKIP_2) | instid1(VALU_DEP_1)
	v_rcp_f32_e32 v34, v33
	s_waitcnt_depctr 0xfff
	v_fma_f32 v35, -v33, v34, 1.0
	v_fmac_f32_e32 v34, v35, v34
	v_div_scale_f32 v35, vcc_lo, 1.0, v32, 1.0
	s_delay_alu instid0(VALU_DEP_1) | instskip(NEXT) | instid1(VALU_DEP_1)
	v_mul_f32_e32 v36, v35, v34
	v_fma_f32 v46, -v33, v36, v35
	s_delay_alu instid0(VALU_DEP_1) | instskip(NEXT) | instid1(VALU_DEP_1)
	v_fmac_f32_e32 v36, v46, v34
	v_fma_f32 v33, -v33, v36, v35
	s_delay_alu instid0(VALU_DEP_1) | instskip(NEXT) | instid1(VALU_DEP_1)
	v_div_fmas_f32 v33, v33, v34, v36
	v_div_fixup_f32 v32, v33, v32, 1.0
	s_delay_alu instid0(VALU_DEP_1)
	v_mul_f32_e32 v31, v31, v32
.LBB6_176:                              ;   in Loop: Header=BB6_170 Depth=4
	s_or_b32 exec_lo, exec_lo, s104
	s_delay_alu instid0(VALU_DEP_1) | instskip(NEXT) | instid1(VALU_DEP_1)
	v_mul_f32_e32 v30, v30, v32
	v_fma_f32 v1, v1, v31, -v30
                                        ; implicit-def: $vgpr30
.LBB6_177:                              ;   in Loop: Header=BB6_170 Depth=4
	s_and_not1_saveexec_b32 s2, s103
; %bb.178:                              ;   in Loop: Header=BB6_170 Depth=4
	v_xor_b32_e32 v1, 0x80000000, v30
	v_dual_mov_b32 v32, 1.0 :: v_dual_mov_b32 v31, 0
; %bb.179:                              ;   in Loop: Header=BB6_170 Depth=4
	s_or_b32 exec_lo, exec_lo, s2
.LBB6_180:                              ;   in Loop: Header=BB6_170 Depth=4
	s_delay_alu instid0(SALU_CYCLE_1)
	s_or_b32 exec_lo, exec_lo, s102
	s_cmp_eq_u32 s100, 0
	s_cbranch_scc1 .LBB6_169
; %bb.181:                              ;   in Loop: Header=BB6_170 Depth=4
	global_store_b32 v[27:28], v1, off
	s_branch .LBB6_169
.LBB6_182:                              ;   in Loop: Header=BB6_142 Depth=3
	s_or_b32 exec_lo, exec_lo, s101
	ds_store_b32 v2, v22 offset:8
.LBB6_183:                              ;   in Loop: Header=BB6_142 Depth=3
	s_or_b32 exec_lo, exec_lo, s59
	global_load_b32 v29, v[18:19], off
.LBB6_184:                              ;   in Loop: Header=BB6_142 Depth=3
	s_or_b32 exec_lo, exec_lo, s58
	s_waitcnt vmcnt(0)
	v_sub_f32_e32 v17, v29, v22
                                        ; implicit-def: $vgpr29
                                        ; implicit-def: $vgpr21
	global_store_b32 v[18:19], v17, off
	global_store_b32 v[23:24], v1, off
                                        ; implicit-def: $vgpr18_vgpr19
                                        ; implicit-def: $vgpr23_vgpr24
                                        ; implicit-def: $vgpr17
.LBB6_185:                              ;   in Loop: Header=BB6_142 Depth=3
	s_and_not1_saveexec_b32 s50, s3
	s_cbranch_execz .LBB6_218
; %bb.186:                              ;   in Loop: Header=BB6_142 Depth=3
	v_ashrrev_i32_e32 v22, 31, v21
	s_mov_b32 s3, exec_lo
                                        ; implicit-def: $vgpr27
	s_delay_alu instid0(VALU_DEP_1) | instskip(NEXT) | instid1(VALU_DEP_1)
	v_lshlrev_b64 v[20:21], 2, v[21:22]
	v_add_co_u32 v25, vcc_lo, s83, v20
	s_delay_alu instid0(VALU_DEP_2)
	v_add_co_ci_u32_e32 v26, vcc_lo, s84, v21, vcc_lo
	v_add_co_u32 v30, vcc_lo, s36, v20
	v_add_co_ci_u32_e32 v31, vcc_lo, s37, v21, vcc_lo
	global_load_b32 v28, v[25:26], off
	global_load_b32 v25, v[30:31], off
	s_waitcnt vmcnt(0)
	v_dual_add_f32 v1, v28, v28 :: v_dual_sub_f32 v22, v25, v29
	s_delay_alu instid0(VALU_DEP_1) | instskip(NEXT) | instid1(VALU_DEP_2)
	v_and_b32_e32 v26, 0x7fffffff, v1
	v_cmpx_ngt_f32_e64 |v22|, |v1|
	s_xor_b32 s3, exec_lo, s3
	s_cbranch_execz .LBB6_192
; %bb.187:                              ;   in Loop: Header=BB6_142 Depth=3
	v_cmp_nlt_f32_e64 s2, |v22|, |v1|
                                        ; implicit-def: $vgpr27
	s_delay_alu instid0(VALU_DEP_1) | instskip(NEXT) | instid1(SALU_CYCLE_1)
	s_and_saveexec_b32 s51, s2
	s_xor_b32 s2, exec_lo, s51
; %bb.188:                              ;   in Loop: Header=BB6_142 Depth=3
	v_cvt_f64_f32_e32 v[26:27], v26
	s_delay_alu instid0(VALU_DEP_1) | instskip(NEXT) | instid1(VALU_DEP_1)
	v_mul_f64 v[26:27], v[26:27], s[16:17]
	v_cvt_f32_f64_e32 v27, v[26:27]
                                        ; implicit-def: $vgpr26
; %bb.189:                              ;   in Loop: Header=BB6_142 Depth=3
	s_and_not1_saveexec_b32 s51, s2
	s_cbranch_execz .LBB6_191
; %bb.190:                              ;   in Loop: Header=BB6_142 Depth=3
	v_and_b32_e32 v27, 0x7fffffff, v22
	s_delay_alu instid0(VALU_DEP_1) | instskip(SKIP_1) | instid1(VALU_DEP_2)
	v_div_scale_f32 v30, null, v26, v26, v27
	v_div_scale_f32 v26, vcc_lo, v27, v26, v27
	v_rcp_f32_e32 v31, v30
	s_waitcnt_depctr 0xfff
	v_fma_f32 v32, -v30, v31, 1.0
	s_delay_alu instid0(VALU_DEP_1) | instskip(NEXT) | instid1(VALU_DEP_1)
	v_fmac_f32_e32 v31, v32, v31
	v_mul_f32_e32 v27, v26, v31
	s_delay_alu instid0(VALU_DEP_1) | instskip(NEXT) | instid1(VALU_DEP_1)
	v_fma_f32 v32, -v30, v27, v26
	v_fmac_f32_e32 v27, v32, v31
	s_delay_alu instid0(VALU_DEP_1) | instskip(NEXT) | instid1(VALU_DEP_1)
	v_fma_f32 v26, -v30, v27, v26
	v_div_fmas_f32 v26, v26, v31, v27
	s_delay_alu instid0(VALU_DEP_1) | instskip(NEXT) | instid1(VALU_DEP_1)
	v_div_fixup_f32 v26, v26, |v1|, |v22|
	v_fma_f32 v26, v26, v26, 1.0
	s_delay_alu instid0(VALU_DEP_1) | instskip(SKIP_1) | instid1(VALU_DEP_2)
	v_mul_f32_e32 v27, 0x4f800000, v26
	v_cmp_gt_f32_e32 vcc_lo, 0xf800000, v26
	v_cndmask_b32_e32 v26, v26, v27, vcc_lo
	s_delay_alu instid0(VALU_DEP_1) | instskip(SKIP_3) | instid1(VALU_DEP_2)
	v_sqrt_f32_e32 v27, v26
	s_waitcnt_depctr 0xfff
	v_add_nc_u32_e32 v30, -1, v27
	v_add_nc_u32_e32 v31, 1, v27
	v_fma_f32 v32, -v30, v27, v26
	s_delay_alu instid0(VALU_DEP_2) | instskip(NEXT) | instid1(VALU_DEP_2)
	v_fma_f32 v33, -v31, v27, v26
	v_cmp_ge_f32_e64 s2, 0, v32
	s_delay_alu instid0(VALU_DEP_1) | instskip(NEXT) | instid1(VALU_DEP_3)
	v_cndmask_b32_e64 v27, v27, v30, s2
	v_cmp_lt_f32_e64 s2, 0, v33
	s_delay_alu instid0(VALU_DEP_1) | instskip(NEXT) | instid1(VALU_DEP_1)
	v_cndmask_b32_e64 v27, v27, v31, s2
	v_mul_f32_e32 v30, 0x37800000, v27
	s_delay_alu instid0(VALU_DEP_1) | instskip(SKIP_1) | instid1(VALU_DEP_2)
	v_cndmask_b32_e32 v27, v27, v30, vcc_lo
	v_cmp_class_f32_e64 vcc_lo, v26, 0x260
	v_cndmask_b32_e32 v26, v27, v26, vcc_lo
	s_delay_alu instid0(VALU_DEP_1)
	v_mul_f32_e64 v27, |v1|, v26
.LBB6_191:                              ;   in Loop: Header=BB6_142 Depth=3
	s_or_b32 exec_lo, exec_lo, s51
                                        ; implicit-def: $vgpr26
.LBB6_192:                              ;   in Loop: Header=BB6_142 Depth=3
	s_and_not1_saveexec_b32 s3, s3
	s_cbranch_execz .LBB6_194
; %bb.193:                              ;   in Loop: Header=BB6_142 Depth=3
	v_and_b32_e32 v27, 0x7fffffff, v22
	s_delay_alu instid0(VALU_DEP_1) | instskip(SKIP_1) | instid1(VALU_DEP_2)
	v_div_scale_f32 v30, null, v27, v27, v26
	v_div_scale_f32 v26, vcc_lo, v26, v27, v26
	v_rcp_f32_e32 v31, v30
	s_waitcnt_depctr 0xfff
	v_fma_f32 v32, -v30, v31, 1.0
	s_delay_alu instid0(VALU_DEP_1) | instskip(NEXT) | instid1(VALU_DEP_1)
	v_fmac_f32_e32 v31, v32, v31
	v_mul_f32_e32 v27, v26, v31
	s_delay_alu instid0(VALU_DEP_1) | instskip(NEXT) | instid1(VALU_DEP_1)
	v_fma_f32 v32, -v30, v27, v26
	v_fmac_f32_e32 v27, v32, v31
	s_delay_alu instid0(VALU_DEP_1) | instskip(NEXT) | instid1(VALU_DEP_1)
	v_fma_f32 v26, -v30, v27, v26
	v_div_fmas_f32 v26, v26, v31, v27
	s_delay_alu instid0(VALU_DEP_1) | instskip(NEXT) | instid1(VALU_DEP_1)
	v_div_fixup_f32 v26, v26, |v22|, |v1|
	v_fma_f32 v26, v26, v26, 1.0
	s_delay_alu instid0(VALU_DEP_1) | instskip(SKIP_1) | instid1(VALU_DEP_2)
	v_mul_f32_e32 v27, 0x4f800000, v26
	v_cmp_gt_f32_e32 vcc_lo, 0xf800000, v26
	v_cndmask_b32_e32 v26, v26, v27, vcc_lo
	s_delay_alu instid0(VALU_DEP_1) | instskip(SKIP_3) | instid1(VALU_DEP_2)
	v_sqrt_f32_e32 v27, v26
	s_waitcnt_depctr 0xfff
	v_add_nc_u32_e32 v30, -1, v27
	v_add_nc_u32_e32 v31, 1, v27
	v_fma_f32 v32, -v30, v27, v26
	s_delay_alu instid0(VALU_DEP_2) | instskip(NEXT) | instid1(VALU_DEP_2)
	v_fma_f32 v33, -v31, v27, v26
	v_cmp_ge_f32_e64 s2, 0, v32
	s_delay_alu instid0(VALU_DEP_1) | instskip(NEXT) | instid1(VALU_DEP_3)
	v_cndmask_b32_e64 v27, v27, v30, s2
	v_cmp_lt_f32_e64 s2, 0, v33
	s_delay_alu instid0(VALU_DEP_1) | instskip(NEXT) | instid1(VALU_DEP_1)
	v_cndmask_b32_e64 v27, v27, v31, s2
	v_mul_f32_e32 v30, 0x37800000, v27
	s_delay_alu instid0(VALU_DEP_1) | instskip(SKIP_1) | instid1(VALU_DEP_2)
	v_cndmask_b32_e32 v27, v27, v30, vcc_lo
	v_cmp_class_f32_e64 vcc_lo, v26, 0x260
	v_cndmask_b32_e32 v26, v27, v26, vcc_lo
	s_delay_alu instid0(VALU_DEP_1)
	v_mul_f32_e64 v27, |v22|, v26
.LBB6_194:                              ;   in Loop: Header=BB6_142 Depth=3
	s_or_b32 exec_lo, exec_lo, s3
	v_cmp_gt_f32_e64 vcc_lo, |v25|, |v29|
	v_add_f32_e32 v31, v29, v25
                                        ; implicit-def: $vgpr26
	s_mov_b32 s2, exec_lo
	v_cndmask_b32_e32 v30, v25, v29, vcc_lo
	v_cndmask_b32_e32 v32, v29, v25, vcc_lo
                                        ; implicit-def: $vgpr29
	s_delay_alu instid0(VALU_DEP_3)
	v_cmpx_ngt_f32_e32 0, v31
	s_xor_b32 s3, exec_lo, s2
	s_cbranch_execz .LBB6_200
; %bb.195:                              ;   in Loop: Header=BB6_142 Depth=3
	s_mov_b32 s51, exec_lo
                                        ; implicit-def: $sgpr2
                                        ; implicit-def: $vgpr26
	v_cmpx_nlt_f32_e32 0, v31
	s_xor_b32 s51, exec_lo, s51
; %bb.196:                              ;   in Loop: Header=BB6_142 Depth=3
	v_mul_f32_e32 v25, 0.5, v27
	v_mul_f32_e32 v26, -0.5, v27
	s_mov_b32 s2, 1
                                        ; implicit-def: $vgpr31
                                        ; implicit-def: $vgpr32
                                        ; implicit-def: $vgpr30
                                        ; implicit-def: $vgpr28
; %bb.197:                              ;   in Loop: Header=BB6_142 Depth=3
	s_or_saveexec_b32 s51, s51
	v_mov_b32_e32 v29, s2
	s_xor_b32 exec_lo, exec_lo, s51
	s_cbranch_execz .LBB6_199
; %bb.198:                              ;   in Loop: Header=BB6_142 Depth=3
	v_add_f32_e32 v25, v31, v27
	v_cvt_f64_f32_e32 v[31:32], v32
	v_cvt_f64_f32_e32 v[28:29], v28
	s_delay_alu instid0(VALU_DEP_3) | instskip(NEXT) | instid1(VALU_DEP_1)
	v_mul_f32_e32 v25, 0.5, v25
	v_cvt_f64_f32_e32 v[33:34], v25
	s_delay_alu instid0(VALU_DEP_1) | instskip(NEXT) | instid1(VALU_DEP_4)
	v_div_scale_f64 v[35:36], null, v[33:34], v[33:34], v[31:32]
	v_div_scale_f64 v[46:47], null, v[33:34], v[33:34], v[28:29]
	v_div_scale_f64 v[56:57], vcc_lo, v[31:32], v[33:34], v[31:32]
	s_delay_alu instid0(VALU_DEP_3) | instskip(NEXT) | instid1(VALU_DEP_2)
	v_rcp_f64_e32 v[48:49], v[35:36]
	v_rcp_f64_e32 v[50:51], v[46:47]
	s_waitcnt_depctr 0xfff
	v_fma_f64 v[52:53], -v[35:36], v[48:49], 1.0
	v_fma_f64 v[54:55], -v[46:47], v[50:51], 1.0
	s_delay_alu instid0(VALU_DEP_2) | instskip(NEXT) | instid1(VALU_DEP_2)
	v_fma_f64 v[48:49], v[48:49], v[52:53], v[48:49]
	v_fma_f64 v[50:51], v[50:51], v[54:55], v[50:51]
	s_delay_alu instid0(VALU_DEP_2) | instskip(NEXT) | instid1(VALU_DEP_2)
	v_fma_f64 v[52:53], -v[35:36], v[48:49], 1.0
	v_fma_f64 v[54:55], -v[46:47], v[50:51], 1.0
	s_delay_alu instid0(VALU_DEP_2) | instskip(SKIP_1) | instid1(VALU_DEP_3)
	v_fma_f64 v[48:49], v[48:49], v[52:53], v[48:49]
	v_div_scale_f64 v[52:53], s2, v[28:29], v[33:34], v[28:29]
	v_fma_f64 v[50:51], v[50:51], v[54:55], v[50:51]
	s_delay_alu instid0(VALU_DEP_3) | instskip(NEXT) | instid1(VALU_DEP_2)
	v_mul_f64 v[54:55], v[56:57], v[48:49]
	v_mul_f64 v[58:59], v[52:53], v[50:51]
	s_delay_alu instid0(VALU_DEP_2) | instskip(NEXT) | instid1(VALU_DEP_2)
	v_fma_f64 v[35:36], -v[35:36], v[54:55], v[56:57]
	v_fma_f64 v[46:47], -v[46:47], v[58:59], v[52:53]
	s_delay_alu instid0(VALU_DEP_2) | instskip(SKIP_1) | instid1(VALU_DEP_2)
	v_div_fmas_f64 v[35:36], v[35:36], v[48:49], v[54:55]
	s_mov_b32 vcc_lo, s2
	v_div_fmas_f64 v[46:47], v[46:47], v[50:51], v[58:59]
	s_delay_alu instid0(VALU_DEP_2) | instskip(NEXT) | instid1(VALU_DEP_2)
	v_div_fixup_f64 v[31:32], v[35:36], v[33:34], v[31:32]
	v_div_fixup_f64 v[46:47], v[46:47], v[33:34], v[28:29]
	v_cvt_f64_f32_e32 v[33:34], v30
	s_delay_alu instid0(VALU_DEP_2) | instskip(NEXT) | instid1(VALU_DEP_1)
	v_mul_f64 v[28:29], v[46:47], v[28:29]
	v_fma_f64 v[28:29], v[31:32], v[33:34], -v[28:29]
	s_delay_alu instid0(VALU_DEP_1)
	v_cvt_f32_f64_e32 v26, v[28:29]
	v_mov_b32_e32 v29, 1
.LBB6_199:                              ;   in Loop: Header=BB6_142 Depth=3
	s_or_b32 exec_lo, exec_lo, s51
                                        ; implicit-def: $vgpr31
                                        ; implicit-def: $vgpr32
                                        ; implicit-def: $vgpr30
                                        ; implicit-def: $vgpr28
.LBB6_200:                              ;   in Loop: Header=BB6_142 Depth=3
	s_and_not1_saveexec_b32 s3, s3
	s_cbranch_execz .LBB6_202
; %bb.201:                              ;   in Loop: Header=BB6_142 Depth=3
	v_sub_f32_e32 v25, v31, v27
	v_cvt_f64_f32_e32 v[31:32], v32
	v_cvt_f64_f32_e32 v[28:29], v28
	s_delay_alu instid0(VALU_DEP_3) | instskip(NEXT) | instid1(VALU_DEP_1)
	v_mul_f32_e32 v25, 0.5, v25
	v_cvt_f64_f32_e32 v[33:34], v25
	s_delay_alu instid0(VALU_DEP_1) | instskip(NEXT) | instid1(VALU_DEP_4)
	v_div_scale_f64 v[35:36], null, v[33:34], v[33:34], v[31:32]
	v_div_scale_f64 v[46:47], null, v[33:34], v[33:34], v[28:29]
	v_div_scale_f64 v[56:57], vcc_lo, v[31:32], v[33:34], v[31:32]
	s_delay_alu instid0(VALU_DEP_3) | instskip(NEXT) | instid1(VALU_DEP_2)
	v_rcp_f64_e32 v[48:49], v[35:36]
	v_rcp_f64_e32 v[50:51], v[46:47]
	s_waitcnt_depctr 0xfff
	v_fma_f64 v[52:53], -v[35:36], v[48:49], 1.0
	v_fma_f64 v[54:55], -v[46:47], v[50:51], 1.0
	s_delay_alu instid0(VALU_DEP_2) | instskip(NEXT) | instid1(VALU_DEP_2)
	v_fma_f64 v[48:49], v[48:49], v[52:53], v[48:49]
	v_fma_f64 v[50:51], v[50:51], v[54:55], v[50:51]
	s_delay_alu instid0(VALU_DEP_2) | instskip(NEXT) | instid1(VALU_DEP_2)
	v_fma_f64 v[52:53], -v[35:36], v[48:49], 1.0
	v_fma_f64 v[54:55], -v[46:47], v[50:51], 1.0
	s_delay_alu instid0(VALU_DEP_2) | instskip(SKIP_1) | instid1(VALU_DEP_3)
	v_fma_f64 v[48:49], v[48:49], v[52:53], v[48:49]
	v_div_scale_f64 v[52:53], s2, v[28:29], v[33:34], v[28:29]
	v_fma_f64 v[50:51], v[50:51], v[54:55], v[50:51]
	s_delay_alu instid0(VALU_DEP_3) | instskip(NEXT) | instid1(VALU_DEP_2)
	v_mul_f64 v[54:55], v[56:57], v[48:49]
	v_mul_f64 v[58:59], v[52:53], v[50:51]
	s_delay_alu instid0(VALU_DEP_2) | instskip(NEXT) | instid1(VALU_DEP_2)
	v_fma_f64 v[35:36], -v[35:36], v[54:55], v[56:57]
	v_fma_f64 v[46:47], -v[46:47], v[58:59], v[52:53]
	s_delay_alu instid0(VALU_DEP_2) | instskip(SKIP_1) | instid1(VALU_DEP_2)
	v_div_fmas_f64 v[35:36], v[35:36], v[48:49], v[54:55]
	s_mov_b32 vcc_lo, s2
	v_div_fmas_f64 v[46:47], v[46:47], v[50:51], v[58:59]
	s_delay_alu instid0(VALU_DEP_2) | instskip(NEXT) | instid1(VALU_DEP_2)
	v_div_fixup_f64 v[31:32], v[35:36], v[33:34], v[31:32]
	v_div_fixup_f64 v[46:47], v[46:47], v[33:34], v[28:29]
	v_cvt_f64_f32_e32 v[33:34], v30
	s_delay_alu instid0(VALU_DEP_2) | instskip(NEXT) | instid1(VALU_DEP_1)
	v_mul_f64 v[28:29], v[46:47], v[28:29]
	v_fma_f64 v[28:29], v[31:32], v[33:34], -v[28:29]
	s_delay_alu instid0(VALU_DEP_1)
	v_cvt_f32_f64_e32 v26, v[28:29]
	v_mov_b32_e32 v29, -1
.LBB6_202:                              ;   in Loop: Header=BB6_142 Depth=3
	s_or_b32 exec_lo, exec_lo, s3
	v_cmp_nle_f32_e64 s2, 0, v22
	s_mov_b32 s51, exec_lo
                                        ; implicit-def: $vgpr28
	s_delay_alu instid0(VALU_DEP_1) | instskip(NEXT) | instid1(VALU_DEP_1)
	v_cndmask_b32_e64 v27, v27, -v27, s2
	v_add_f32_e32 v22, v22, v27
                                        ; implicit-def: $vgpr27
	s_delay_alu instid0(VALU_DEP_1)
	v_cmpx_ngt_f32_e64 |v22|, |v1|
	s_xor_b32 s51, exec_lo, s51
	s_cbranch_execz .LBB6_206
; %bb.203:                              ;   in Loop: Header=BB6_142 Depth=3
	v_dual_mov_b32 v27, 0 :: v_dual_mov_b32 v28, 1.0
	s_mov_b32 s52, exec_lo
	v_cmpx_neq_f32_e32 0, v1
	s_cbranch_execz .LBB6_205
; %bb.204:                              ;   in Loop: Header=BB6_142 Depth=3
	v_div_scale_f32 v27, null, v1, v1, -v22
	v_div_scale_f32 v31, vcc_lo, -v22, v1, -v22
	s_delay_alu instid0(VALU_DEP_2) | instskip(SKIP_2) | instid1(VALU_DEP_1)
	v_rcp_f32_e32 v28, v27
	s_waitcnt_depctr 0xfff
	v_fma_f32 v30, -v27, v28, 1.0
	v_fmac_f32_e32 v28, v30, v28
	s_delay_alu instid0(VALU_DEP_1) | instskip(NEXT) | instid1(VALU_DEP_1)
	v_mul_f32_e32 v30, v31, v28
	v_fma_f32 v32, -v27, v30, v31
	s_delay_alu instid0(VALU_DEP_1) | instskip(NEXT) | instid1(VALU_DEP_1)
	v_fmac_f32_e32 v30, v32, v28
	v_fma_f32 v27, -v27, v30, v31
	s_delay_alu instid0(VALU_DEP_1) | instskip(NEXT) | instid1(VALU_DEP_1)
	v_div_fmas_f32 v27, v27, v28, v30
	v_div_fixup_f32 v1, v27, v1, -v22
	s_delay_alu instid0(VALU_DEP_1) | instskip(NEXT) | instid1(VALU_DEP_1)
	v_fma_f32 v22, v1, v1, 1.0
	v_mul_f32_e32 v27, 0x4f800000, v22
	v_cmp_gt_f32_e32 vcc_lo, 0xf800000, v22
	s_delay_alu instid0(VALU_DEP_2) | instskip(NEXT) | instid1(VALU_DEP_1)
	v_cndmask_b32_e32 v22, v22, v27, vcc_lo
	v_sqrt_f32_e32 v27, v22
	s_waitcnt_depctr 0xfff
	v_add_nc_u32_e32 v28, -1, v27
	v_add_nc_u32_e32 v30, 1, v27
	s_delay_alu instid0(VALU_DEP_2) | instskip(NEXT) | instid1(VALU_DEP_2)
	v_fma_f32 v31, -v28, v27, v22
	v_fma_f32 v32, -v30, v27, v22
	s_delay_alu instid0(VALU_DEP_2) | instskip(NEXT) | instid1(VALU_DEP_1)
	v_cmp_ge_f32_e64 s3, 0, v31
	v_cndmask_b32_e64 v27, v27, v28, s3
	s_delay_alu instid0(VALU_DEP_3) | instskip(NEXT) | instid1(VALU_DEP_1)
	v_cmp_lt_f32_e64 s3, 0, v32
	v_cndmask_b32_e64 v27, v27, v30, s3
	s_delay_alu instid0(VALU_DEP_1) | instskip(NEXT) | instid1(VALU_DEP_1)
	v_mul_f32_e32 v28, 0x37800000, v27
	v_cndmask_b32_e32 v27, v27, v28, vcc_lo
	v_cmp_class_f32_e64 vcc_lo, v22, 0x260
	s_delay_alu instid0(VALU_DEP_2) | instskip(NEXT) | instid1(VALU_DEP_1)
	v_cndmask_b32_e32 v22, v27, v22, vcc_lo
	v_div_scale_f32 v27, null, v22, v22, 1.0
	s_delay_alu instid0(VALU_DEP_1) | instskip(SKIP_2) | instid1(VALU_DEP_1)
	v_rcp_f32_e32 v28, v27
	s_waitcnt_depctr 0xfff
	v_fma_f32 v30, -v27, v28, 1.0
	v_fmac_f32_e32 v28, v30, v28
	v_div_scale_f32 v30, vcc_lo, 1.0, v22, 1.0
	s_delay_alu instid0(VALU_DEP_1) | instskip(NEXT) | instid1(VALU_DEP_1)
	v_mul_f32_e32 v31, v30, v28
	v_fma_f32 v32, -v27, v31, v30
	s_delay_alu instid0(VALU_DEP_1) | instskip(NEXT) | instid1(VALU_DEP_1)
	v_fmac_f32_e32 v31, v32, v28
	v_fma_f32 v27, -v27, v31, v30
	s_delay_alu instid0(VALU_DEP_1) | instskip(NEXT) | instid1(VALU_DEP_1)
	v_div_fmas_f32 v27, v27, v28, v31
	v_div_fixup_f32 v28, v27, v22, 1.0
	s_delay_alu instid0(VALU_DEP_1)
	v_mul_f32_e32 v27, v1, v28
.LBB6_205:                              ;   in Loop: Header=BB6_142 Depth=3
	s_or_b32 exec_lo, exec_lo, s52
                                        ; implicit-def: $vgpr22
                                        ; implicit-def: $vgpr1
.LBB6_206:                              ;   in Loop: Header=BB6_142 Depth=3
	s_and_not1_saveexec_b32 s51, s51
	s_cbranch_execz .LBB6_208
; %bb.207:                              ;   in Loop: Header=BB6_142 Depth=3
	v_div_scale_f32 v27, null, v22, v22, -v1
	v_div_scale_f32 v31, vcc_lo, -v1, v22, -v1
	s_delay_alu instid0(VALU_DEP_2) | instskip(SKIP_2) | instid1(VALU_DEP_1)
	v_rcp_f32_e32 v28, v27
	s_waitcnt_depctr 0xfff
	v_fma_f32 v30, -v27, v28, 1.0
	v_fmac_f32_e32 v28, v30, v28
	s_delay_alu instid0(VALU_DEP_1) | instskip(NEXT) | instid1(VALU_DEP_1)
	v_mul_f32_e32 v30, v31, v28
	v_fma_f32 v32, -v27, v30, v31
	s_delay_alu instid0(VALU_DEP_1) | instskip(NEXT) | instid1(VALU_DEP_1)
	v_fmac_f32_e32 v30, v32, v28
	v_fma_f32 v27, -v27, v30, v31
	s_delay_alu instid0(VALU_DEP_1) | instskip(NEXT) | instid1(VALU_DEP_1)
	v_div_fmas_f32 v27, v27, v28, v30
	v_div_fixup_f32 v1, v27, v22, -v1
	s_delay_alu instid0(VALU_DEP_1) | instskip(NEXT) | instid1(VALU_DEP_1)
	v_fma_f32 v22, v1, v1, 1.0
	v_mul_f32_e32 v27, 0x4f800000, v22
	v_cmp_gt_f32_e32 vcc_lo, 0xf800000, v22
	s_delay_alu instid0(VALU_DEP_2) | instskip(NEXT) | instid1(VALU_DEP_1)
	v_cndmask_b32_e32 v22, v22, v27, vcc_lo
	v_sqrt_f32_e32 v27, v22
	s_waitcnt_depctr 0xfff
	v_add_nc_u32_e32 v28, -1, v27
	v_add_nc_u32_e32 v30, 1, v27
	s_delay_alu instid0(VALU_DEP_2) | instskip(NEXT) | instid1(VALU_DEP_2)
	v_fma_f32 v31, -v28, v27, v22
	v_fma_f32 v32, -v30, v27, v22
	s_delay_alu instid0(VALU_DEP_2) | instskip(NEXT) | instid1(VALU_DEP_1)
	v_cmp_ge_f32_e64 s3, 0, v31
	v_cndmask_b32_e64 v27, v27, v28, s3
	s_delay_alu instid0(VALU_DEP_3) | instskip(NEXT) | instid1(VALU_DEP_1)
	v_cmp_lt_f32_e64 s3, 0, v32
	v_cndmask_b32_e64 v27, v27, v30, s3
	s_delay_alu instid0(VALU_DEP_1) | instskip(NEXT) | instid1(VALU_DEP_1)
	v_mul_f32_e32 v28, 0x37800000, v27
	v_cndmask_b32_e32 v27, v27, v28, vcc_lo
	v_cmp_class_f32_e64 vcc_lo, v22, 0x260
	s_delay_alu instid0(VALU_DEP_2) | instskip(NEXT) | instid1(VALU_DEP_1)
	v_cndmask_b32_e32 v22, v27, v22, vcc_lo
	v_div_scale_f32 v27, null, v22, v22, 1.0
	s_delay_alu instid0(VALU_DEP_1) | instskip(SKIP_2) | instid1(VALU_DEP_1)
	v_rcp_f32_e32 v28, v27
	s_waitcnt_depctr 0xfff
	v_fma_f32 v30, -v27, v28, 1.0
	v_fmac_f32_e32 v28, v30, v28
	v_div_scale_f32 v30, vcc_lo, 1.0, v22, 1.0
	s_delay_alu instid0(VALU_DEP_1) | instskip(NEXT) | instid1(VALU_DEP_1)
	v_mul_f32_e32 v31, v30, v28
	v_fma_f32 v32, -v27, v31, v30
	s_delay_alu instid0(VALU_DEP_1) | instskip(NEXT) | instid1(VALU_DEP_1)
	v_fmac_f32_e32 v31, v32, v28
	v_fma_f32 v27, -v27, v31, v30
	s_delay_alu instid0(VALU_DEP_1) | instskip(NEXT) | instid1(VALU_DEP_1)
	v_div_fmas_f32 v27, v27, v28, v31
	v_div_fixup_f32 v27, v27, v22, 1.0
	s_delay_alu instid0(VALU_DEP_1)
	v_mul_f32_e32 v28, v1, v27
.LBB6_208:                              ;   in Loop: Header=BB6_142 Depth=3
	s_or_b32 exec_lo, exec_lo, s51
	v_cndmask_b32_e64 v1, 1, -1, s2
	v_add_co_u32 v20, s2, s38, v20
	s_delay_alu instid0(VALU_DEP_1) | instskip(NEXT) | instid1(VALU_DEP_3)
	v_add_co_ci_u32_e64 v21, s2, s39, v21, s2
	v_cmp_eq_u32_e32 vcc_lo, v29, v1
	v_add_nc_u32_e32 v17, -2, v17
	v_cndmask_b32_e64 v1, v28, -v27, vcc_lo
	v_cndmask_b32_e32 v29, v27, v28, vcc_lo
	v_add_co_u32 v27, vcc_lo, v20, s42
	v_add_co_ci_u32_e32 v28, vcc_lo, s43, v21, vcc_lo
	v_add_co_u32 v22, vcc_lo, s87, v23
	v_add_co_ci_u32_e32 v23, vcc_lo, s88, v24, vcc_lo
	s_clause 0x1
	global_store_b32 v[20:21], v1, off
	global_store_b32 v[27:28], v29, off offset:-4
	global_store_b64 v[18:19], v[25:26], off offset:-4
	global_store_b32 v[22:23], v2, off
	ds_store_b32 v2, v17
	s_or_b32 exec_lo, exec_lo, s50
                                        ; implicit-def: $vgpr1
.LBB6_209:                              ;   in Loop: Header=BB6_142 Depth=3
	s_and_not1_saveexec_b32 s2, s19
	s_cbranch_execz .LBB6_211
.LBB6_210:                              ;   in Loop: Header=BB6_142 Depth=3
	ds_store_b32 v2, v1
.LBB6_211:                              ;   in Loop: Header=BB6_142 Depth=3
	s_or_b32 exec_lo, exec_lo, s2
.LBB6_212:                              ;   in Loop: Header=BB6_142 Depth=3
	s_delay_alu instid0(SALU_CYCLE_1)
	s_or_b32 exec_lo, exec_lo, s4
	s_waitcnt lgkmcnt(0)
	s_waitcnt_vscnt null, 0x0
	s_barrier
	buffer_gl0_inv
	ds_load_b64 v[17:18], v2
	s_waitcnt lgkmcnt(0)
	v_readfirstlane_b32 s2, v18
	s_delay_alu instid0(VALU_DEP_1)
	v_cmp_eq_u32_e32 vcc_lo, s2, v17
	v_mov_b32_e32 v17, s2
	s_cbranch_vccnz .LBB6_141
; %bb.213:                              ;   in Loop: Header=BB6_142 Depth=3
	s_and_saveexec_b32 s4, s1
	s_cbranch_execz .LBB6_140
; %bb.214:                              ;   in Loop: Header=BB6_142 Depth=3
	ds_load_b32 v1, v2 offset:16
	s_ashr_i32 s3, s2, 31
	s_mul_i32 s52, s2, s27
	s_lshl_b64 s[50:51], s[2:3], 2
	s_waitcnt lgkmcnt(0)
	v_readfirstlane_b32 s19, v1
	v_mov_b32_e32 v1, v0
	s_delay_alu instid0(VALU_DEP_2)
	s_sub_i32 s19, s19, s2
	s_add_u32 s50, s38, s50
	s_addc_u32 s51, s39, s51
	s_ashr_i32 s53, s52, 31
	s_mul_hi_i32 s3, s19, s10
	s_lshl_b64 s[54:55], s[52:53], 2
	s_mul_i32 s2, s19, s10
	s_add_u32 s52, s85, s54
	s_addc_u32 s53, s86, s55
	s_cmp_gt_i32 s19, 0
	v_add_co_u32 v17, vcc_lo, v43, s54
	v_add_co_ci_u32_e32 v18, vcc_lo, s55, v44, vcc_lo
	s_cselect_b32 s54, -1, 0
	s_lshl_b64 s[2:3], s[2:3], 2
	s_mov_b32 s55, 0
	s_add_u32 s56, s52, s2
	s_addc_u32 s57, s53, s3
	s_branch .LBB6_216
.LBB6_215:                              ;   in Loop: Header=BB6_216 Depth=4
	v_add_nc_u32_e32 v1, s13, v1
	v_add_co_u32 v19, vcc_lo, s56, v19
	v_add_co_ci_u32_e32 v20, vcc_lo, s57, v20, vcc_lo
	s_delay_alu instid0(VALU_DEP_3) | instskip(SKIP_1) | instid1(VALU_DEP_1)
	v_cmp_le_i32_e32 vcc_lo, s22, v1
	v_add_co_u32 v17, s2, v17, s72
	v_add_co_ci_u32_e64 v18, s2, 0, v18, s2
	s_or_b32 s55, vcc_lo, s55
	s_waitcnt vmcnt(0) lgkmcnt(0)
	flat_store_b32 v[19:20], v23
	s_and_not1_b32 exec_lo, exec_lo, s55
	s_cbranch_execz .LBB6_140
.LBB6_216:                              ;   Parent Loop BB6_7 Depth=1
                                        ;     Parent Loop BB6_40 Depth=2
                                        ;       Parent Loop BB6_142 Depth=3
                                        ; =>      This Loop Header: Depth=4
                                        ;           Child Loop BB6_217 Depth 5
	v_lshlrev_b64 v[19:20], 2, v[1:2]
	s_mov_b64 s[2:3], s[50:51]
	s_mov_b32 s58, s19
	s_delay_alu instid0(VALU_DEP_1) | instskip(NEXT) | instid1(VALU_DEP_2)
	v_add_co_u32 v21, vcc_lo, s52, v19
	v_add_co_ci_u32_e32 v22, vcc_lo, s53, v20, vcc_lo
	s_and_not1_b32 vcc_lo, exec_lo, s54
	flat_load_b32 v23, v[21:22]
	v_dual_mov_b32 v22, v18 :: v_dual_mov_b32 v21, v17
	s_cbranch_vccnz .LBB6_215
	.p2align	6
.LBB6_217:                              ;   Parent Loop BB6_7 Depth=1
                                        ;     Parent Loop BB6_40 Depth=2
                                        ;       Parent Loop BB6_142 Depth=3
                                        ;         Parent Loop BB6_216 Depth=4
                                        ; =>        This Inner Loop Header: Depth=5
	s_delay_alu instid0(VALU_DEP_1) | instskip(NEXT) | instid1(VALU_DEP_2)
	v_add_co_u32 v24, vcc_lo, v21, s8
	v_add_co_ci_u32_e32 v25, vcc_lo, s9, v22, vcc_lo
	s_add_u32 s100, s2, s23
	s_addc_u32 s101, s3, s95
	global_load_b32 v26, v2, s[100:101]
	flat_load_b32 v27, v[24:25]
	global_load_b32 v28, v2, s[2:3]
	s_add_i32 s58, s58, -1
	s_add_u32 s2, s2, 4
	s_addc_u32 s3, s3, 0
	s_cmp_eq_u32 s58, 0
	s_waitcnt vmcnt(1) lgkmcnt(0)
	v_dual_mul_f32 v29, v26, v27 :: v_dual_mul_f32 v26, v23, v26
	s_waitcnt vmcnt(0)
	s_delay_alu instid0(VALU_DEP_1) | instskip(NEXT) | instid1(VALU_DEP_2)
	v_fmac_f32_e32 v29, v23, v28
	v_fma_f32 v23, v28, v27, -v26
	flat_store_b32 v[21:22], v29
	v_dual_mov_b32 v21, v24 :: v_dual_mov_b32 v22, v25
	s_cbranch_scc0 .LBB6_217
	s_branch .LBB6_215
.LBB6_218:                              ;   in Loop: Header=BB6_142 Depth=3
	s_or_b32 exec_lo, exec_lo, s50
                                        ; implicit-def: $vgpr1
	s_and_not1_saveexec_b32 s2, s19
	s_cbranch_execnz .LBB6_210
	s_branch .LBB6_211
.LBB6_219:                              ;   in Loop: Header=BB6_40 Depth=2
	v_mov_b32_e32 v24, v16
	v_dual_mov_b32 v18, v45 :: v_dual_mov_b32 v23, v15
	v_dual_mov_b32 v22, v14 :: v_dual_mov_b32 v21, v13
.LBB6_220:                              ;   in Loop: Header=BB6_40 Depth=2
	s_barrier
	buffer_gl0_inv
	ds_load_b32 v1, v2 offset:24
	s_waitcnt lgkmcnt(0)
	v_cmp_nlt_f32_e32 vcc_lo, s30, v1
	s_cbranch_vccnz .LBB6_227
; %bb.221:                              ;   in Loop: Header=BB6_40 Depth=2
	v_div_scale_f32 v15, null, v1, v1, s30
	v_div_scale_f32 v17, vcc_lo, s30, v1, s30
	s_delay_alu instid0(VALU_DEP_2) | instskip(SKIP_2) | instid1(VALU_DEP_1)
	v_rcp_f32_e32 v16, v15
	s_waitcnt_depctr 0xfff
	v_fma_f32 v13, -v15, v16, 1.0
	v_fmac_f32_e32 v16, v13, v16
	ds_load_2addr_b32 v[13:14], v2 offset0:4 offset1:8
	v_mul_f32_e32 v19, v17, v16
	s_delay_alu instid0(VALU_DEP_1) | instskip(NEXT) | instid1(VALU_DEP_1)
	v_fma_f32 v20, -v15, v19, v17
	v_fmac_f32_e32 v19, v20, v16
	s_delay_alu instid0(VALU_DEP_1) | instskip(NEXT) | instid1(VALU_DEP_1)
	v_fma_f32 v15, -v15, v19, v17
	v_div_fmas_f32 v15, v15, v16, v19
	s_delay_alu instid0(VALU_DEP_1)
	v_div_fixup_f32 v17, v15, v1, s30
	s_and_saveexec_b32 s2, s0
	s_cbranch_execz .LBB6_223
; %bb.222:                              ;   in Loop: Header=BB6_40 Depth=2
	s_waitcnt lgkmcnt(0)
	v_ashrrev_i32_e32 v16, 31, v14
	v_mov_b32_e32 v15, v14
	s_delay_alu instid0(VALU_DEP_1) | instskip(NEXT) | instid1(VALU_DEP_1)
	v_lshlrev_b64 v[15:16], 2, v[15:16]
	v_add_co_u32 v15, vcc_lo, s36, v15
	s_delay_alu instid0(VALU_DEP_2)
	v_add_co_ci_u32_e32 v16, vcc_lo, s37, v16, vcc_lo
	global_load_b32 v19, v[15:16], off
	s_waitcnt vmcnt(0)
	v_mul_f32_e32 v19, v17, v19
	global_store_b32 v[15:16], v19, off
.LBB6_223:                              ;   in Loop: Header=BB6_40 Depth=2
	s_or_b32 exec_lo, exec_lo, s2
	s_waitcnt lgkmcnt(0)
	v_add_nc_u32_e32 v15, v13, v0
	s_mov_b32 s3, exec_lo
	s_delay_alu instid0(VALU_DEP_1)
	v_cmpx_lt_i32_e64 v15, v14
	s_cbranch_execz .LBB6_226
; %bb.224:                              ;   in Loop: Header=BB6_40 Depth=2
	v_ashrrev_i32_e32 v16, 31, v15
	s_mov_b32 s4, 0
	s_delay_alu instid0(VALU_DEP_1) | instskip(NEXT) | instid1(VALU_DEP_1)
	v_lshlrev_b64 v[19:20], 2, v[15:16]
	v_add_co_u32 v13, vcc_lo, s34, v19
	s_delay_alu instid0(VALU_DEP_2)
	v_add_co_ci_u32_e32 v16, vcc_lo, s35, v20, vcc_lo
	.p2align	6
.LBB6_225:                              ;   Parent Loop BB6_7 Depth=1
                                        ;     Parent Loop BB6_40 Depth=2
                                        ; =>    This Inner Loop Header: Depth=3
	s_delay_alu instid0(VALU_DEP_2) | instskip(NEXT) | instid1(VALU_DEP_2)
	v_add_co_u32 v19, vcc_lo, s31, v13
	v_add_co_ci_u32_e32 v20, vcc_lo, s61, v16, vcc_lo
	v_add_co_u32 v25, vcc_lo, s62, v13
	v_add_nc_u32_e32 v15, s13, v15
	global_load_b32 v26, v[19:20], off
	v_cmp_ge_i32_e64 s2, v15, v14
	s_delay_alu instid0(VALU_DEP_1)
	s_or_b32 s4, s2, s4
	s_waitcnt vmcnt(0)
	v_mul_f32_e32 v27, v17, v26
	v_add_co_ci_u32_e32 v26, vcc_lo, s63, v16, vcc_lo
	v_add_co_u32 v13, vcc_lo, v13, s72
	global_store_b32 v[19:20], v27, off
	global_load_b32 v19, v[25:26], off
	v_add_co_ci_u32_e32 v16, vcc_lo, 0, v16, vcc_lo
	s_waitcnt vmcnt(0)
	v_mul_f32_e32 v19, v17, v19
	global_store_b32 v[25:26], v19, off
	s_and_not1_b32 exec_lo, exec_lo, s4
	s_cbranch_execnz .LBB6_225
.LBB6_226:                              ;   in Loop: Header=BB6_40 Depth=2
	s_or_b32 exec_lo, exec_lo, s3
.LBB6_227:                              ;   in Loop: Header=BB6_40 Depth=2
	v_cmp_ngt_f32_e32 vcc_lo, s29, v1
	s_cbranch_vccnz .LBB6_234
; %bb.228:                              ;   in Loop: Header=BB6_40 Depth=2
	v_div_scale_f32 v15, null, v1, v1, s29
	v_div_scale_f32 v17, vcc_lo, s29, v1, s29
	s_delay_alu instid0(VALU_DEP_2) | instskip(SKIP_2) | instid1(VALU_DEP_1)
	v_rcp_f32_e32 v16, v15
	s_waitcnt_depctr 0xfff
	v_fma_f32 v13, -v15, v16, 1.0
	v_fmac_f32_e32 v16, v13, v16
	ds_load_2addr_b32 v[13:14], v2 offset0:4 offset1:8
	v_mul_f32_e32 v19, v17, v16
	s_delay_alu instid0(VALU_DEP_1) | instskip(NEXT) | instid1(VALU_DEP_1)
	v_fma_f32 v20, -v15, v19, v17
	v_fmac_f32_e32 v19, v20, v16
	s_delay_alu instid0(VALU_DEP_1) | instskip(NEXT) | instid1(VALU_DEP_1)
	v_fma_f32 v15, -v15, v19, v17
	v_div_fmas_f32 v15, v15, v16, v19
	s_delay_alu instid0(VALU_DEP_1)
	v_div_fixup_f32 v1, v15, v1, s29
	s_and_saveexec_b32 s2, s0
	s_cbranch_execz .LBB6_230
; %bb.229:                              ;   in Loop: Header=BB6_40 Depth=2
	s_waitcnt lgkmcnt(0)
	v_ashrrev_i32_e32 v16, 31, v14
	v_mov_b32_e32 v15, v14
	s_delay_alu instid0(VALU_DEP_1) | instskip(NEXT) | instid1(VALU_DEP_1)
	v_lshlrev_b64 v[15:16], 2, v[15:16]
	v_add_co_u32 v15, vcc_lo, s36, v15
	s_delay_alu instid0(VALU_DEP_2)
	v_add_co_ci_u32_e32 v16, vcc_lo, s37, v16, vcc_lo
	global_load_b32 v17, v[15:16], off
	s_waitcnt vmcnt(0)
	v_mul_f32_e32 v17, v1, v17
	global_store_b32 v[15:16], v17, off
.LBB6_230:                              ;   in Loop: Header=BB6_40 Depth=2
	s_or_b32 exec_lo, exec_lo, s2
	s_waitcnt lgkmcnt(0)
	v_add_nc_u32_e32 v15, v13, v0
	s_mov_b32 s3, exec_lo
	s_delay_alu instid0(VALU_DEP_1)
	v_cmpx_lt_i32_e64 v15, v14
	s_cbranch_execz .LBB6_233
; %bb.231:                              ;   in Loop: Header=BB6_40 Depth=2
	v_ashrrev_i32_e32 v16, 31, v15
	s_mov_b32 s4, 0
	s_delay_alu instid0(VALU_DEP_1) | instskip(NEXT) | instid1(VALU_DEP_1)
	v_lshlrev_b64 v[16:17], 2, v[15:16]
	v_add_co_u32 v13, vcc_lo, s34, v16
	s_delay_alu instid0(VALU_DEP_2)
	v_add_co_ci_u32_e32 v16, vcc_lo, s35, v17, vcc_lo
	.p2align	6
.LBB6_232:                              ;   Parent Loop BB6_7 Depth=1
                                        ;     Parent Loop BB6_40 Depth=2
                                        ; =>    This Inner Loop Header: Depth=3
	s_delay_alu instid0(VALU_DEP_2) | instskip(NEXT) | instid1(VALU_DEP_2)
	v_add_co_u32 v19, vcc_lo, s31, v13
	v_add_co_ci_u32_e32 v20, vcc_lo, s61, v16, vcc_lo
	v_add_co_u32 v25, vcc_lo, s62, v13
	v_add_co_ci_u32_e32 v26, vcc_lo, s63, v16, vcc_lo
	global_load_b32 v17, v[19:20], off
	v_add_nc_u32_e32 v15, s13, v15
	v_add_co_u32 v13, vcc_lo, v13, s72
	v_add_co_ci_u32_e32 v16, vcc_lo, 0, v16, vcc_lo
	s_delay_alu instid0(VALU_DEP_3) | instskip(NEXT) | instid1(VALU_DEP_1)
	v_cmp_ge_i32_e64 s2, v15, v14
	s_or_b32 s4, s2, s4
	s_waitcnt vmcnt(0)
	v_mul_f32_e32 v17, v1, v17
	global_store_b32 v[19:20], v17, off
	global_load_b32 v17, v[25:26], off
	s_waitcnt vmcnt(0)
	v_mul_f32_e32 v17, v1, v17
	global_store_b32 v[25:26], v17, off
	s_and_not1_b32 exec_lo, exec_lo, s4
	s_cbranch_execnz .LBB6_232
.LBB6_233:                              ;   in Loop: Header=BB6_40 Depth=2
	s_or_b32 exec_lo, exec_lo, s3
.LBB6_234:                              ;   in Loop: Header=BB6_40 Depth=2
	s_waitcnt_vscnt null, 0x0
	s_barrier
	buffer_gl0_inv
.LBB6_235:                              ;   in Loop: Header=BB6_40 Depth=2
	ds_load_2addr_b32 v[13:14], v2 offset0:3 offset1:7
	s_waitcnt lgkmcnt(0)
	v_cmp_gt_i32_e32 vcc_lo, s22, v13
	v_cmp_gt_i32_e64 s2, s15, v14
	v_readfirstlane_b32 s50, v13
	s_delay_alu instid0(VALU_DEP_2) | instskip(NEXT) | instid1(SALU_CYCLE_1)
	s_and_b32 s2, vcc_lo, s2
	s_and_not1_b32 vcc_lo, exec_lo, s2
	s_cbranch_vccnz .LBB6_238
; %bb.236:                              ;   in Loop: Header=BB6_40 Depth=2
	v_mov_b32_e32 v15, v23
	v_dual_mov_b32 v45, v18 :: v_dual_mov_b32 v16, v24
	v_dual_mov_b32 v13, v21 :: v_dual_mov_b32 v14, v22
	s_and_saveexec_b32 s4, s0
	s_cbranch_execnz .LBB6_17
	s_branch .LBB6_40
.LBB6_237:                              ;   in Loop: Header=BB6_7 Depth=1
	v_dual_mov_b32 v24, v16 :: v_dual_mov_b32 v23, v15
	v_dual_mov_b32 v22, v14 :: v_dual_mov_b32 v21, v13
	v_mov_b32_e32 v18, v45
.LBB6_238:                              ;   in Loop: Header=BB6_7 Depth=1
	s_mov_b32 s2, exec_lo
	v_cmpx_gt_i32_e64 s18, v0
	s_cbranch_execz .LBB6_5
; %bb.239:                              ;   in Loop: Header=BB6_7 Depth=1
	s_lshl_b64 s[20:21], s[20:21], 2
	v_mov_b32_e32 v1, v0
	v_add_co_u32 v13, vcc_lo, v40, s20
	v_add_co_ci_u32_e32 v14, vcc_lo, s21, v41, vcc_lo
	s_mov_b32 s3, 0
	s_set_inst_prefetch_distance 0x1
	s_branch .LBB6_241
	.p2align	6
.LBB6_240:                              ;   in Loop: Header=BB6_241 Depth=2
	s_or_b32 exec_lo, exec_lo, s1
	v_add_nc_u32_e32 v1, s13, v1
	v_add_co_u32 v13, s1, v13, s72
	s_delay_alu instid0(VALU_DEP_1) | instskip(NEXT) | instid1(VALU_DEP_3)
	v_add_co_ci_u32_e64 v14, s1, 0, v14, s1
	v_cmp_le_i32_e32 vcc_lo, s18, v1
	s_or_b32 s3, vcc_lo, s3
	s_delay_alu instid0(SALU_CYCLE_1)
	s_and_not1_b32 exec_lo, exec_lo, s3
	s_cbranch_execz .LBB6_5
.LBB6_241:                              ;   Parent Loop BB6_7 Depth=1
                                        ; =>  This Inner Loop Header: Depth=2
	global_load_b32 v15, v[13:14], off
	s_mov_b32 s1, exec_lo
	s_waitcnt vmcnt(0)
	v_cmpx_neq_f32_e32 0, v15
	s_cbranch_execz .LBB6_240
; %bb.242:                              ;   in Loop: Header=BB6_241 Depth=2
	s_mov_b32 s4, exec_lo
	s_delay_alu instid0(SALU_CYCLE_1) | instskip(NEXT) | instid1(VALU_DEP_1)
	v_mbcnt_lo_u32_b32 v15, s4, 0
	v_cmp_eq_u32_e32 vcc_lo, 0, v15
	s_and_b32 s15, exec_lo, vcc_lo
	s_delay_alu instid0(SALU_CYCLE_1)
	s_mov_b32 exec_lo, s15
	s_cbranch_execz .LBB6_240
; %bb.243:                              ;   in Loop: Header=BB6_241 Depth=2
	s_bcnt1_i32_b32 s4, s4
	s_delay_alu instid0(SALU_CYCLE_1)
	v_mov_b32_e32 v15, s4
	global_atomic_add_u32 v2, v15, s[6:7]
	s_branch .LBB6_240
.LBB6_244:
	s_endpgm
.LBB6_245:
                                        ; implicit-def: $sgpr24_sgpr25
	s_branch .LBB6_2
	.section	.rodata,"a",@progbits
	.p2align	6, 0x0
	.amdhsa_kernel _ZN9rocsolver6v33100L19stedcx_solve_kernelIfEEviPT_lS3_lS3_iilPiS3_S4_S2_S2_S2_
		.amdhsa_group_segment_fixed_size 36
		.amdhsa_private_segment_fixed_size 0
		.amdhsa_kernarg_size 360
		.amdhsa_user_sgpr_count 13
		.amdhsa_user_sgpr_dispatch_ptr 0
		.amdhsa_user_sgpr_queue_ptr 0
		.amdhsa_user_sgpr_kernarg_segment_ptr 1
		.amdhsa_user_sgpr_dispatch_id 0
		.amdhsa_user_sgpr_private_segment_size 0
		.amdhsa_wavefront_size32 1
		.amdhsa_uses_dynamic_stack 0
		.amdhsa_enable_private_segment 0
		.amdhsa_system_sgpr_workgroup_id_x 1
		.amdhsa_system_sgpr_workgroup_id_y 1
		.amdhsa_system_sgpr_workgroup_id_z 1
		.amdhsa_system_sgpr_workgroup_info 0
		.amdhsa_system_vgpr_workitem_id 0
		.amdhsa_next_free_vgpr 70
		.amdhsa_next_free_sgpr 105
		.amdhsa_reserve_vcc 1
		.amdhsa_float_round_mode_32 0
		.amdhsa_float_round_mode_16_64 0
		.amdhsa_float_denorm_mode_32 3
		.amdhsa_float_denorm_mode_16_64 3
		.amdhsa_dx10_clamp 1
		.amdhsa_ieee_mode 1
		.amdhsa_fp16_overflow 0
		.amdhsa_workgroup_processor_mode 1
		.amdhsa_memory_ordered 1
		.amdhsa_forward_progress 0
		.amdhsa_shared_vgpr_count 0
		.amdhsa_exception_fp_ieee_invalid_op 0
		.amdhsa_exception_fp_denorm_src 0
		.amdhsa_exception_fp_ieee_div_zero 0
		.amdhsa_exception_fp_ieee_overflow 0
		.amdhsa_exception_fp_ieee_underflow 0
		.amdhsa_exception_fp_ieee_inexact 0
		.amdhsa_exception_int_div_zero 0
	.end_amdhsa_kernel
	.section	.text._ZN9rocsolver6v33100L19stedcx_solve_kernelIfEEviPT_lS3_lS3_iilPiS3_S4_S2_S2_S2_,"axG",@progbits,_ZN9rocsolver6v33100L19stedcx_solve_kernelIfEEviPT_lS3_lS3_iilPiS3_S4_S2_S2_S2_,comdat
.Lfunc_end6:
	.size	_ZN9rocsolver6v33100L19stedcx_solve_kernelIfEEviPT_lS3_lS3_iilPiS3_S4_S2_S2_S2_, .Lfunc_end6-_ZN9rocsolver6v33100L19stedcx_solve_kernelIfEEviPT_lS3_lS3_iilPiS3_S4_S2_S2_S2_
                                        ; -- End function
	.section	.AMDGPU.csdata,"",@progbits
; Kernel info:
; codeLenInByte = 15716
; NumSgprs: 107
; NumVgprs: 70
; ScratchSize: 0
; MemoryBound: 0
; FloatMode: 240
; IeeeMode: 1
; LDSByteSize: 36 bytes/workgroup (compile time only)
; SGPRBlocks: 13
; VGPRBlocks: 8
; NumSGPRsForWavesPerEU: 107
; NumVGPRsForWavesPerEU: 70
; Occupancy: 16
; WaveLimiterHint : 1
; COMPUTE_PGM_RSRC2:SCRATCH_EN: 0
; COMPUTE_PGM_RSRC2:USER_SGPR: 13
; COMPUTE_PGM_RSRC2:TRAP_HANDLER: 0
; COMPUTE_PGM_RSRC2:TGID_X_EN: 1
; COMPUTE_PGM_RSRC2:TGID_Y_EN: 1
; COMPUTE_PGM_RSRC2:TGID_Z_EN: 1
; COMPUTE_PGM_RSRC2:TIDIG_COMP_CNT: 0
	.section	.text._ZN9rocsolver6v33100L26stedcx_mergePrepare_kernelIfEEviiPT_lS3_lS3_iilS3_S3_PiS2_,"axG",@progbits,_ZN9rocsolver6v33100L26stedcx_mergePrepare_kernelIfEEviiPT_lS3_lS3_iilS3_S3_PiS2_,comdat
	.globl	_ZN9rocsolver6v33100L26stedcx_mergePrepare_kernelIfEEviiPT_lS3_lS3_iilS3_S3_PiS2_ ; -- Begin function _ZN9rocsolver6v33100L26stedcx_mergePrepare_kernelIfEEviiPT_lS3_lS3_iilS3_S3_PiS2_
	.p2align	8
	.type	_ZN9rocsolver6v33100L26stedcx_mergePrepare_kernelIfEEviiPT_lS3_lS3_iilS3_S3_PiS2_,@function
_ZN9rocsolver6v33100L26stedcx_mergePrepare_kernelIfEEviiPT_lS3_lS3_iilS3_S3_PiS2_: ; @_ZN9rocsolver6v33100L26stedcx_mergePrepare_kernelIfEEviiPT_lS3_lS3_iilS3_S3_PiS2_
; %bb.0:
	s_clause 0x1
	s_load_b128 s[16:19], s[0:1], 0x28
	s_load_b256 s[4:11], s[0:1], 0x38
	s_waitcnt lgkmcnt(0)
	s_cmp_lg_u64 s[16:17], 0
	s_cbranch_scc0 .LBB7_78
; %bb.1:
	s_mul_i32 s2, s15, s5
	s_mul_hi_u32 s3, s15, s4
	s_ashr_i32 s25, s15, 31
	s_add_i32 s2, s3, s2
	s_mul_i32 s3, s25, s4
	s_ashr_i32 s5, s18, 31
	s_add_i32 s3, s2, s3
	s_mul_i32 s2, s15, s4
	s_mov_b32 s4, s18
	s_lshl_b64 s[2:3], s[2:3], 2
	s_delay_alu instid0(SALU_CYCLE_1) | instskip(SKIP_2) | instid1(SALU_CYCLE_1)
	s_add_u32 s12, s16, s2
	s_addc_u32 s16, s17, s3
	s_lshl_b64 s[2:3], s[4:5], 2
	s_add_u32 s4, s12, s2
	s_addc_u32 s5, s16, s3
	s_cbranch_execnz .LBB7_3
.LBB7_2:
	s_ashr_i32 s25, s15, 31
                                        ; implicit-def: $sgpr4_sgpr5
.LBB7_3:
	s_load_b64 s[16:17], s[0:1], 0x0
	s_waitcnt lgkmcnt(0)
	s_mul_i32 s2, s17, 5
	s_mov_b32 s20, s17
	s_add_i32 s2, s2, 2
	s_delay_alu instid0(SALU_CYCLE_1) | instskip(NEXT) | instid1(SALU_CYCLE_1)
	s_mul_i32 s2, s2, s15
	s_ashr_i32 s3, s2, 31
	s_delay_alu instid0(SALU_CYCLE_1) | instskip(NEXT) | instid1(SALU_CYCLE_1)
	s_lshl_b64 s[2:3], s[2:3], 2
	s_add_u32 s12, s10, s2
	s_addc_u32 s18, s11, s3
	s_ashr_i32 s21, s17, 31
	s_delay_alu instid0(SALU_CYCLE_1) | instskip(NEXT) | instid1(SALU_CYCLE_1)
	s_lshl_b64 s[22:23], s[20:21], 2
	s_add_u32 s20, s12, s22
	s_addc_u32 s21, s18, s23
	s_load_b32 s33, s[20:21], 0x4
	s_waitcnt lgkmcnt(0)
	s_cmp_ge_i32 s14, s33
	s_cbranch_scc1 .LBB7_77
; %bb.4:
	s_clause 0x2
	s_load_b256 s[36:43], s[0:1], 0x8
	s_load_b32 s46, s[0:1], 0x6c
	s_load_b32 s1, s[0:1], 0x58
	v_lshlrev_b32_e32 v3, 2, v0
	s_bfm_b32 s51, s16, 0
	s_delay_alu instid0(VALU_DEP_1)
	v_add_nc_u32_e32 v12, 0, v3
	s_waitcnt lgkmcnt(0)
	s_mul_i32 s24, s15, s39
	s_mul_hi_u32 s27, s15, s38
	s_mul_i32 s28, s25, s38
	s_add_i32 s24, s27, s24
	s_mul_i32 s26, s15, s38
	s_add_i32 s27, s24, s28
	s_mul_i32 s29, s15, s43
	s_lshl_b64 s[26:27], s[26:27], 2
	s_mul_hi_u32 s24, s15, s42
	s_add_u32 s34, s36, s26
	s_mul_i32 s25, s25, s42
	s_addc_u32 s35, s37, s27
	s_add_i32 s26, s24, s29
	s_mul_i32 s24, s15, s42
	s_add_i32 s25, s26, s25
	s_mul_i32 s26, s17, s17
	s_lshl_b64 s[24:25], s[24:25], 2
	s_mov_b32 s27, 0
	s_add_u32 s30, s40, s24
	s_addc_u32 s31, s41, s25
	s_add_u32 s36, s20, s22
	s_addc_u32 s37, s21, s23
	;; [unrolled: 2-line block ×3, first 2 shown]
	s_lshl_b32 s15, s15, 1
	v_mul_f32_e64 v13, 0x41000000, s1
	s_mul_i32 s24, s15, s17
	s_mul_i32 s28, s15, s26
	s_ashr_i32 s25, s24, 31
	s_delay_alu instid0(SALU_CYCLE_1) | instskip(NEXT) | instid1(SALU_CYCLE_1)
	s_lshl_b64 s[24:25], s[24:25], 2
	s_add_u32 s38, s6, s24
	s_addc_u32 s39, s7, s25
	s_ashr_i32 s29, s28, 31
	s_delay_alu instid0(SALU_CYCLE_1) | instskip(NEXT) | instid1(SALU_CYCLE_1)
	s_lshl_b64 s[6:7], s[28:29], 2
	s_add_u32 s8, s8, s6
	s_addc_u32 s9, s9, s7
	s_lshl_b64 s[6:7], s[26:27], 2
	s_delay_alu instid0(SALU_CYCLE_1)
	s_add_u32 s40, s8, s6
	s_addc_u32 s41, s9, s7
	s_and_b32 s42, s46, 0xffff
	s_mov_b32 s6, 0x667f3bcd
	s_lshl_b32 s0, s42, 2
	s_mov_b32 s7, 0x3ff6a09e
	s_add_i32 s43, s0, 0
	s_add_u32 s44, s4, -4
	s_addc_u32 s45, s5, -1
	s_bfe_u32 s46, s46, 0xf0001
	s_lshl_b32 s0, 1, s16
	v_cvt_f32_u32_e32 v1, s46
	s_lshl_b32 s59, 2, s16
	s_not_b32 s47, s16
	s_cmp_gt_i32 s0, 1
	s_mul_i32 s8, s59, s13
	v_rcp_iflag_f32_e32 v1, v1
	s_cselect_b32 s48, -1, 0
	s_ashr_i32 s9, s8, 31
	s_cmp_gt_i32 s59, 1
	v_cmp_gt_u32_e64 s1, s46, v0
	s_cselect_b32 s49, -1, 0
	s_cmp_gt_i32 s17, 0
	s_mul_i32 s52, s19, s46
	s_cselect_b32 s50, -1, 0
	s_sub_i32 s0, 0, s46
	s_waitcnt_depctr 0xfff
	v_mul_f32_e32 v1, 0x4f7ffffe, v1
	v_cndmask_b32_e64 v5, -4, 0, s1
	s_add_u32 s53, s53, 8
	s_addc_u32 s54, s54, 0
	s_add_u32 s55, s53, s22
	v_cvt_u32_f32_e32 v1, v1
	s_addc_u32 s56, s54, s23
	s_add_u32 s2, s22, s2
	s_addc_u32 s3, s23, s3
	s_add_u32 s15, s10, s2
	v_mul_lo_u32 v2, s0, v1
	s_addc_u32 s22, s11, s3
	v_cmp_eq_u32_e64 s0, 0, v0
	s_delay_alu instid0(VALU_DEP_2) | instskip(NEXT) | instid1(VALU_DEP_1)
	v_mul_hi_u32 v2, v1, v2
	v_add_nc_u32_e32 v1, v1, v2
	s_delay_alu instid0(VALU_DEP_1) | instskip(NEXT) | instid1(VALU_DEP_1)
	v_mul_hi_u32 v1, v0, v1
	v_dual_mov_b32 v11, 0 :: v_dual_add_nc_u32 v4, 1, v1
	v_mul_lo_u32 v2, v1, s46
	s_delay_alu instid0(VALU_DEP_1) | instskip(NEXT) | instid1(VALU_DEP_1)
	v_sub_nc_u32_e32 v2, v0, v2
	v_cmp_le_u32_e32 vcc_lo, s46, v2
	v_add_nc_u32_e32 v14, s43, v3
	v_subrev_nc_u32_e32 v3, s46, v2
	v_cndmask_b32_e32 v1, v1, v4, vcc_lo
	v_cndmask_b32_e64 v4, -1, 0, s1
	s_delay_alu instid0(VALU_DEP_2) | instskip(NEXT) | instid1(VALU_DEP_1)
	v_dual_cndmask_b32 v2, v2, v3 :: v_dual_add_nc_u32 v3, 1, v1
	v_cmp_le_u32_e32 vcc_lo, s46, v2
	s_delay_alu instid0(VALU_DEP_2) | instskip(SKIP_2) | instid1(VALU_DEP_3)
	v_cndmask_b32_e32 v3, v1, v3, vcc_lo
	v_add_co_u32 v15, vcc_lo, s30, v5
	v_add_co_ci_u32_e32 v16, vcc_lo, s31, v4, vcc_lo
	v_lshl_add_u32 v1, v3, s16, s8
	v_mul_lo_u32 v3, v3, s46
	s_lshl_b32 s16, s42, 1
	s_lshl_b64 s[8:9], s[8:9], 2
	s_and_b32 s16, s16, 0x1fffc
	v_ashrrev_i32_e32 v2, 31, v1
	s_add_u32 s2, s2, s8
	s_addc_u32 s3, s3, s9
	s_add_u32 s2, s2, s10
	v_sub_nc_u32_e32 v17, v0, v3
	v_lshlrev_b64 v[1:2], 2, v[1:2]
	s_addc_u32 s3, s3, s11
	s_add_u32 s57, s2, 12
	s_addc_u32 s58, s3, 0
	s_add_i32 s59, s59, -1
	s_delay_alu instid0(VALU_DEP_1) | instskip(SKIP_1) | instid1(VALU_DEP_2)
	v_add_co_u32 v4, vcc_lo, s15, v1
	v_add_co_ci_u32_e32 v5, vcc_lo, s22, v2, vcc_lo
	v_add_co_u32 v18, vcc_lo, v4, 12
	s_delay_alu instid0(VALU_DEP_2)
	v_add_co_ci_u32_e32 v19, vcc_lo, 0, v5, vcc_lo
	s_branch .LBB7_6
.LBB7_5:                                ;   in Loop: Header=BB7_6 Depth=1
	s_set_inst_prefetch_distance 0x2
	s_add_i32 s14, s14, 8
	s_delay_alu instid0(SALU_CYCLE_1)
	s_cmp_ge_i32 s14, s33
	s_cbranch_scc1 .LBB7_77
.LBB7_6:                                ; =>This Loop Header: Depth=1
                                        ;     Child Loop BB7_14 Depth 2
                                        ;     Child Loop BB7_17 Depth 2
	;; [unrolled: 1-line block ×7, first 2 shown]
                                        ;       Child Loop BB7_37 Depth 3
                                        ;         Child Loop BB7_68 Depth 4
                                        ;     Child Loop BB7_73 Depth 2
	s_ashr_i32 s15, s14, 31
	s_delay_alu instid0(SALU_CYCLE_1)
	s_lshl_b64 s[2:3], s[14:15], 2
	s_waitcnt_vscnt null, 0x0
	s_barrier
	s_add_u32 s2, s12, s2
	s_addc_u32 s3, s18, s3
	buffer_gl0_inv
	global_load_b64 v[3:4], v11, s[2:3]
	s_mov_b32 s10, 0
	s_waitcnt vmcnt(0)
	v_readfirstlane_b32 s2, v3
	v_readfirstlane_b32 s3, v4
	s_delay_alu instid0(VALU_DEP_1) | instskip(NEXT) | instid1(SALU_CYCLE_1)
	s_sub_i32 s3, s3, s2
	s_cmp_lt_i32 s3, 3
	s_cbranch_scc1 .LBB7_11
; %bb.7:                                ;   in Loop: Header=BB7_6 Depth=1
	s_cmp_lt_u32 s3, 5
	s_mov_b32 s10, 1
	s_cbranch_scc1 .LBB7_11
; %bb.8:                                ;   in Loop: Header=BB7_6 Depth=1
	s_cmp_lt_u32 s3, 33
	s_mov_b32 s10, 2
	s_cbranch_scc1 .LBB7_11
; %bb.9:                                ;   in Loop: Header=BB7_6 Depth=1
	s_cmpk_lt_u32 s3, 0xe9
	s_mov_b32 s10, 4
	s_cbranch_scc1 .LBB7_11
; %bb.10:                               ;   in Loop: Header=BB7_6 Depth=1
	s_cmpk_lt_u32 s3, 0x128
	s_cselect_b32 s10, 5, 7
	s_cmpk_lt_u32 s3, 0x79b
	s_cselect_b32 s10, s10, 8
.LBB7_11:                               ;   in Loop: Header=BB7_6 Depth=1
	s_delay_alu instid0(SALU_CYCLE_1) | instskip(NEXT) | instid1(SALU_CYCLE_1)
	s_add_i32 s3, s10, s47
	s_lshl_b32 s10, 1, s3
	s_cmp_gt_i32 s3, -1
	s_cselect_b32 s3, s10, 0
	s_delay_alu instid0(SALU_CYCLE_1)
	s_cmp_ge_i32 s13, s3
	s_cbranch_scc1 .LBB7_5
; %bb.12:                               ;   in Loop: Header=BB7_6 Depth=1
	s_ashr_i32 s3, s2, 31
	s_delay_alu instid0(SALU_CYCLE_1) | instskip(NEXT) | instid1(SALU_CYCLE_1)
	s_lshl_b64 s[10:11], s[2:3], 2
	s_add_u32 s3, s20, s10
	s_addc_u32 s15, s21, s11
	s_add_u32 s22, s36, s10
	s_addc_u32 s23, s37, s11
	v_add_co_u32 v3, vcc_lo, s22, v1
	v_add_co_ci_u32_e32 v4, vcc_lo, s23, v2, vcc_lo
	v_add_co_u32 v6, vcc_lo, s3, v1
	v_add_co_ci_u32_e32 v7, vcc_lo, s15, v2, vcc_lo
	s_and_not1_b32 vcc_lo, exec_lo, s48
	s_clause 0x1
	global_load_b32 v5, v[3:4], off offset:8
	global_load_b32 v3, v[6:7], off offset:8
	s_cbranch_vccnz .LBB7_15
; %bb.13:                               ;   in Loop: Header=BB7_6 Depth=1
	v_add_co_u32 v6, vcc_lo, v18, s10
	v_add_co_ci_u32_e32 v7, vcc_lo, s11, v19, vcc_lo
	s_mov_b32 s2, s51
.LBB7_14:                               ;   Parent Loop BB7_6 Depth=1
                                        ; =>  This Inner Loop Header: Depth=2
	global_load_b32 v4, v[6:7], off
	v_add_co_u32 v6, vcc_lo, v6, 4
	v_add_co_ci_u32_e32 v7, vcc_lo, 0, v7, vcc_lo
	s_add_i32 s2, s2, -1
	s_delay_alu instid0(SALU_CYCLE_1)
	s_cmp_eq_u32 s2, 0
	s_waitcnt vmcnt(0)
	v_add_nc_u32_e32 v3, v4, v3
	s_cbranch_scc0 .LBB7_14
.LBB7_15:                               ;   in Loop: Header=BB7_6 Depth=1
	s_waitcnt vmcnt(0)
	s_delay_alu instid0(VALU_DEP_1) | instskip(SKIP_2) | instid1(VALU_DEP_1)
	v_add3_u32 v4, v5, v3, -1
	s_mov_b32 s25, 0
	s_mov_b32 s24, exec_lo
	v_cndmask_b32_e64 v6, v5, v4, s1
	s_delay_alu instid0(VALU_DEP_1) | instskip(NEXT) | instid1(VALU_DEP_1)
	v_ashrrev_i32_e32 v7, 31, v6
	v_lshlrev_b64 v[6:7], 2, v[6:7]
	s_delay_alu instid0(VALU_DEP_1) | instskip(NEXT) | instid1(VALU_DEP_2)
	v_add_co_u32 v6, vcc_lo, v15, v6
	v_add_co_ci_u32_e32 v7, vcc_lo, v16, v7, vcc_lo
	global_load_b32 v10, v[6:7], off
	v_dual_mov_b32 v6, 0 :: v_dual_mov_b32 v7, 0
	v_cmpx_lt_i32_e64 v17, v3
	s_cbranch_execz .LBB7_21
; %bb.16:                               ;   in Loop: Header=BB7_6 Depth=1
	v_ashrrev_i32_e32 v6, 31, v5
	v_add_nc_u32_e32 v7, v17, v5
	v_ashrrev_i32_e32 v4, 31, v3
	s_delay_alu instid0(VALU_DEP_3) | instskip(NEXT) | instid1(VALU_DEP_3)
	v_lshlrev_b64 v[5:6], 2, v[5:6]
	v_ashrrev_i32_e32 v8, 31, v7
	s_delay_alu instid0(VALU_DEP_3) | instskip(NEXT) | instid1(VALU_DEP_3)
	v_lshlrev_b64 v[20:21], 2, v[3:4]
	v_add_co_u32 v4, vcc_lo, s44, v5
	s_delay_alu instid0(VALU_DEP_4) | instskip(SKIP_2) | instid1(VALU_DEP_4)
	v_add_co_ci_u32_e32 v9, vcc_lo, s45, v6, vcc_lo
	v_add_co_u32 v22, vcc_lo, s4, v5
	v_add_co_ci_u32_e32 v23, vcc_lo, s5, v6, vcc_lo
	v_add_co_u32 v24, vcc_lo, v4, v20
	v_lshlrev_b64 v[4:5], 2, v[7:8]
	v_add_co_ci_u32_e32 v9, vcc_lo, v9, v21, vcc_lo
	v_mul_lo_u32 v6, s19, v7
	s_delay_alu instid0(VALU_DEP_4)
	v_cndmask_b32_e64 v21, v22, v24, s1
	v_mov_b32_e32 v22, v17
	v_add_co_u32 v8, vcc_lo, s38, v4
	v_cndmask_b32_e64 v20, v23, v9, s1
	v_add_co_ci_u32_e32 v9, vcc_lo, s39, v5, vcc_lo
	s_set_inst_prefetch_distance 0x1
	.p2align	6
.LBB7_17:                               ;   Parent Loop BB7_6 Depth=1
                                        ; =>  This Inner Loop Header: Depth=2
	v_ashrrev_i32_e32 v7, 31, v6
	v_add_nc_u32_e32 v22, s46, v22
	s_delay_alu instid0(VALU_DEP_2) | instskip(SKIP_1) | instid1(VALU_DEP_2)
	v_lshlrev_b64 v[23:24], 2, v[6:7]
	v_add_nc_u32_e32 v6, s52, v6
	v_add_co_u32 v23, vcc_lo, v21, v23
	s_delay_alu instid0(VALU_DEP_3) | instskip(SKIP_3) | instid1(VALU_DEP_1)
	v_add_co_ci_u32_e32 v24, vcc_lo, v20, v24, vcc_lo
	flat_load_b32 v7, v[23:24]
	s_waitcnt vmcnt(0) lgkmcnt(0)
	v_cvt_f64_f32_e32 v[23:24], v7
	v_div_scale_f64 v[25:26], null, s[6:7], s[6:7], v[23:24]
	v_div_scale_f64 v[31:32], vcc_lo, v[23:24], s[6:7], v[23:24]
	s_delay_alu instid0(VALU_DEP_2) | instskip(SKIP_2) | instid1(VALU_DEP_1)
	v_rcp_f64_e32 v[27:28], v[25:26]
	s_waitcnt_depctr 0xfff
	v_fma_f64 v[29:30], -v[25:26], v[27:28], 1.0
	v_fma_f64 v[27:28], v[27:28], v[29:30], v[27:28]
	s_delay_alu instid0(VALU_DEP_1) | instskip(NEXT) | instid1(VALU_DEP_1)
	v_fma_f64 v[29:30], -v[25:26], v[27:28], 1.0
	v_fma_f64 v[27:28], v[27:28], v[29:30], v[27:28]
	s_delay_alu instid0(VALU_DEP_1) | instskip(NEXT) | instid1(VALU_DEP_1)
	v_mul_f64 v[29:30], v[31:32], v[27:28]
	v_fma_f64 v[25:26], -v[25:26], v[29:30], v[31:32]
	s_delay_alu instid0(VALU_DEP_1) | instskip(SKIP_2) | instid1(VALU_DEP_2)
	v_div_fmas_f64 v[25:26], v[25:26], v[27:28], v[29:30]
	v_cmp_ge_i32_e32 vcc_lo, v22, v3
	s_or_b32 s25, vcc_lo, s25
	v_div_fixup_f64 v[23:24], v[25:26], s[6:7], v[23:24]
	s_delay_alu instid0(VALU_DEP_1) | instskip(SKIP_2) | instid1(VALU_DEP_1)
	v_cvt_f32_f64_e32 v7, v[23:24]
	global_store_b32 v[8:9], v7, off
	v_add_co_u32 v8, s2, v8, s16
	v_add_co_ci_u32_e64 v9, s2, 0, v9, s2
	s_and_not1_b32 exec_lo, exec_lo, s25
	s_cbranch_execnz .LBB7_17
; %bb.18:                               ;   in Loop: Header=BB7_6 Depth=1
	s_set_inst_prefetch_distance 0x2
	s_or_b32 exec_lo, exec_lo, s25
	v_dual_mov_b32 v6, 0 :: v_dual_mov_b32 v7, 0
	v_mov_b32_e32 v8, v17
	s_mov_b32 s2, 0
	.p2align	6
.LBB7_19:                               ;   Parent Loop BB7_6 Depth=1
                                        ; =>  This Inner Loop Header: Depth=2
	v_add_co_u32 v20, vcc_lo, s34, v4
	v_add_co_ci_u32_e32 v21, vcc_lo, s35, v5, vcc_lo
	v_add_co_u32 v22, vcc_lo, s38, v4
	v_add_co_ci_u32_e32 v23, vcc_lo, s39, v5, vcc_lo
	v_add_nc_u32_e32 v8, s46, v8
	global_load_b32 v9, v[20:21], off
	global_load_b32 v20, v[22:23], off
	v_add_co_u32 v4, vcc_lo, v4, s16
	v_add_co_ci_u32_e32 v5, vcc_lo, 0, v5, vcc_lo
	v_cmp_ge_i32_e32 vcc_lo, v8, v3
	s_or_b32 s2, vcc_lo, s2
	s_waitcnt vmcnt(1)
	v_cmp_gt_f32_e64 s25, |v9|, v7
	s_delay_alu instid0(VALU_DEP_1) | instskip(SKIP_2) | instid1(VALU_DEP_1)
	v_cndmask_b32_e64 v7, v7, |v9|, s25
	s_waitcnt vmcnt(0)
	v_cmp_gt_f32_e64 s25, |v20|, v6
	v_cndmask_b32_e64 v6, v6, |v20|, s25
	s_and_not1_b32 exec_lo, exec_lo, s2
	s_cbranch_execnz .LBB7_19
; %bb.20:                               ;   in Loop: Header=BB7_6 Depth=1
	s_or_b32 exec_lo, exec_lo, s2
.LBB7_21:                               ;   in Loop: Header=BB7_6 Depth=1
	s_delay_alu instid0(SALU_CYCLE_1)
	s_or_b32 exec_lo, exec_lo, s24
	s_mov_b32 s2, s46
	ds_store_b32 v12, v7
	ds_store_b32 v14, v6
	s_waitcnt vmcnt(0) lgkmcnt(0)
	s_waitcnt_vscnt null, 0x0
	s_barrier
	buffer_gl0_inv
	s_set_inst_prefetch_distance 0x1
	s_branch .LBB7_23
	.p2align	6
.LBB7_22:                               ;   in Loop: Header=BB7_23 Depth=2
	s_or_b32 exec_lo, exec_lo, s24
	s_lshr_b32 s24, s2, 1
	s_cmp_gt_u32 s2, 1
	s_mov_b32 s2, s24
	s_waitcnt lgkmcnt(0)
	s_barrier
	buffer_gl0_inv
	s_cbranch_scc0 .LBB7_25
.LBB7_23:                               ;   Parent Loop BB7_6 Depth=1
                                        ; =>  This Inner Loop Header: Depth=2
	s_mov_b32 s24, exec_lo
	v_cmpx_gt_u32_e64 s2, v0
	s_cbranch_execz .LBB7_22
; %bb.24:                               ;   in Loop: Header=BB7_23 Depth=2
	s_lshl_b32 s25, s2, 2
	s_delay_alu instid0(SALU_CYCLE_1)
	v_add_nc_u32_e32 v3, s25, v12
	v_add_nc_u32_e32 v4, s25, v14
	ds_load_b32 v3, v3
	ds_load_b32 v4, v4
	s_waitcnt lgkmcnt(1)
	v_cmp_gt_f32_e32 vcc_lo, v3, v7
	v_cndmask_b32_e32 v7, v7, v3, vcc_lo
	s_waitcnt lgkmcnt(0)
	v_cmp_gt_f32_e32 vcc_lo, v4, v6
	v_cndmask_b32_e32 v6, v6, v4, vcc_lo
	ds_store_b32 v12, v7
	ds_store_b32 v14, v6
	s_branch .LBB7_22
.LBB7_25:                               ;   in Loop: Header=BB7_6 Depth=1
	s_set_inst_prefetch_distance 0x2
	s_add_u32 s2, s3, s8
	s_addc_u32 s3, s15, s9
	v_mov_b32_e32 v4, s43
	global_load_b32 v5, v11, s[2:3] offset:8
	ds_load_b32 v3, v11
	ds_load_b32 v4, v4
	s_and_not1_b32 vcc_lo, exec_lo, s49
	s_waitcnt vmcnt(0)
	v_readfirstlane_b32 s15, v5
	s_cbranch_vccnz .LBB7_28
; %bb.26:                               ;   in Loop: Header=BB7_6 Depth=1
	s_add_u32 s2, s57, s10
	s_addc_u32 s3, s58, s11
	s_mov_b32 s10, s59
.LBB7_27:                               ;   Parent Loop BB7_6 Depth=1
                                        ; =>  This Inner Loop Header: Depth=2
	global_load_b32 v5, v11, s[2:3]
	s_waitcnt vmcnt(0)
	v_readfirstlane_b32 s11, v5
	s_delay_alu instid0(VALU_DEP_1) | instskip(SKIP_3) | instid1(SALU_CYCLE_1)
	s_add_i32 s15, s11, s15
	s_add_u32 s2, s2, 4
	s_addc_u32 s3, s3, 0
	s_add_i32 s10, s10, -1
	s_cmp_eq_u32 s10, 0
	s_cbranch_scc0 .LBB7_27
.LBB7_28:                               ;   in Loop: Header=BB7_6 Depth=1
	s_add_u32 s2, s22, s8
	s_addc_u32 s3, s23, s9
	s_waitcnt lgkmcnt(0)
	v_cmp_gt_f32_e32 vcc_lo, v4, v3
	global_load_b32 v5, v11, s[2:3] offset:8
	s_mov_b32 s3, exec_lo
	v_dual_add_f32 v20, v10, v10 :: v_dual_cndmask_b32 v3, v3, v4
	s_delay_alu instid0(VALU_DEP_1)
	v_mul_f32_e32 v21, v13, v3
	s_waitcnt vmcnt(0)
	v_readfirstlane_b32 s10, v5
	v_cmpx_gt_i32_e64 s15, v0
	s_cbranch_execz .LBB7_31
; %bb.29:                               ;   in Loop: Header=BB7_6 Depth=1
	v_mov_b32_e32 v3, v0
	s_mov_b32 s11, 0
	.p2align	6
.LBB7_30:                               ;   Parent Loop BB7_6 Depth=1
                                        ; =>  This Inner Loop Header: Depth=2
	s_delay_alu instid0(VALU_DEP_1) | instskip(NEXT) | instid1(VALU_DEP_1)
	v_add_nc_u32_e32 v4, s10, v3
	v_ashrrev_i32_e32 v5, 31, v4
	s_delay_alu instid0(VALU_DEP_1) | instskip(NEXT) | instid1(VALU_DEP_1)
	v_lshlrev_b64 v[4:5], 2, v[4:5]
	v_add_co_u32 v6, vcc_lo, s38, v4
	s_delay_alu instid0(VALU_DEP_2) | instskip(SKIP_1) | instid1(VALU_DEP_1)
	v_add_co_ci_u32_e32 v7, vcc_lo, s39, v5, vcc_lo
	v_add_co_u32 v4, s2, s53, v4
	v_add_co_ci_u32_e64 v5, s2, s54, v5, s2
	global_load_b32 v6, v[6:7], off
	s_waitcnt vmcnt(0)
	v_dual_mul_f32 v6, v20, v6 :: v_dual_add_nc_u32 v3, s42, v3
	s_delay_alu instid0(VALU_DEP_1) | instskip(NEXT) | instid1(VALU_DEP_2)
	v_cmp_le_i32_e32 vcc_lo, s15, v3
	v_cmp_nle_f32_e64 s2, |v6|, v21
	s_or_b32 s11, vcc_lo, s11
	s_delay_alu instid0(VALU_DEP_1)
	v_cndmask_b32_e64 v6, 0, 1, s2
	global_store_b32 v[4:5], v6, off
	s_and_not1_b32 exec_lo, exec_lo, s11
	s_cbranch_execnz .LBB7_30
.LBB7_31:                               ;   in Loop: Header=BB7_6 Depth=1
	s_or_b32 exec_lo, exec_lo, s3
	s_and_b32 s2, s15, 0x80000001
	s_waitcnt_vscnt null, 0x0
	s_cmp_eq_u32 s2, 1
	s_barrier
	s_cselect_b32 s2, -1, 0
	buffer_gl0_inv
	s_cmp_lg_u32 s2, 0
	s_addc_u32 s11, s15, 0
	s_delay_alu instid0(SALU_CYCLE_1)
	s_cmp_lt_i32 s11, 2
	s_cbranch_scc1 .LBB7_69
; %bb.32:                               ;   in Loop: Header=BB7_6 Depth=1
	s_lshr_b32 s2, s11, 31
	s_add_i32 s23, s11, -1
	s_add_i32 s2, s11, s2
	s_add_i32 s25, s11, -2
	s_ashr_i32 s22, s2, 1
	s_mov_b32 s26, 0
	v_cmp_gt_i32_e64 s2, s22, v0
	s_add_i32 s24, s22, -1
	s_branch .LBB7_34
.LBB7_33:                               ;   in Loop: Header=BB7_34 Depth=2
	s_or_b32 exec_lo, exec_lo, s27
	s_add_i32 s26, s26, 1
	s_delay_alu instid0(SALU_CYCLE_1)
	s_cmp_eq_u32 s26, s23
	s_cbranch_scc1 .LBB7_69
.LBB7_34:                               ;   Parent Loop BB7_6 Depth=1
                                        ; =>  This Loop Header: Depth=2
                                        ;       Child Loop BB7_37 Depth 3
                                        ;         Child Loop BB7_68 Depth 4
	s_delay_alu instid0(VALU_DEP_1)
	s_and_saveexec_b32 s27, s2
	s_cbranch_execz .LBB7_33
; %bb.35:                               ;   in Loop: Header=BB7_34 Depth=2
	v_mov_b32_e32 v22, v0
	s_mov_b32 s28, 0
	s_branch .LBB7_37
.LBB7_36:                               ;   in Loop: Header=BB7_37 Depth=3
	s_or_b32 exec_lo, exec_lo, s29
	v_add_nc_u32_e32 v22, s42, v22
	s_waitcnt lgkmcnt(0)
	s_waitcnt_vscnt null, 0x0
	s_barrier
	buffer_gl0_inv
	v_cmp_le_i32_e32 vcc_lo, s22, v22
	s_or_b32 s28, vcc_lo, s28
	s_delay_alu instid0(SALU_CYCLE_1)
	s_and_not1_b32 exec_lo, exec_lo, s28
	s_cbranch_execz .LBB7_33
.LBB7_37:                               ;   Parent Loop BB7_6 Depth=1
                                        ;     Parent Loop BB7_34 Depth=2
                                        ; =>    This Loop Header: Depth=3
                                        ;         Child Loop BB7_68 Depth 4
	v_mov_b32_e32 v5, 0
	s_mov_b32 s3, exec_lo
	v_cmpx_ne_u32_e32 0, v22
	s_cbranch_execz .LBB7_45
; %bb.38:                               ;   in Loop: Header=BB7_37 Depth=3
	v_subrev_nc_u32_e32 v3, s26, v22
	s_mov_b32 s29, exec_lo
	s_delay_alu instid0(VALU_DEP_1)
	v_lshlrev_b32_e32 v5, 1, v3
	v_cmpx_ge_u32_e64 s26, v22
	s_cbranch_execz .LBB7_44
; %bb.39:                               ;   in Loop: Header=BB7_37 Depth=3
	v_add_nc_u32_e32 v4, s24, v22
	s_mov_b32 s30, exec_lo
	s_delay_alu instid0(VALU_DEP_1)
	v_cmpx_le_i32_e64 s26, v4
	s_xor_b32 s30, exec_lo, s30
; %bb.40:                               ;   in Loop: Header=BB7_37 Depth=3
	v_sub_nc_u32_e32 v5, 1, v5
                                        ; implicit-def: $vgpr3
; %bb.41:                               ;   in Loop: Header=BB7_37 Depth=3
	s_and_not1_saveexec_b32 s30, s30
; %bb.42:                               ;   in Loop: Header=BB7_37 Depth=3
	v_add_lshl_u32 v5, v3, s23, 1
; %bb.43:                               ;   in Loop: Header=BB7_37 Depth=3
	s_or_b32 exec_lo, exec_lo, s30
.LBB7_44:                               ;   in Loop: Header=BB7_37 Depth=3
	s_delay_alu instid0(SALU_CYCLE_1)
	s_or_b32 exec_lo, exec_lo, s29
.LBB7_45:                               ;   in Loop: Header=BB7_37 Depth=3
	s_delay_alu instid0(SALU_CYCLE_1) | instskip(SKIP_3) | instid1(VALU_DEP_2)
	s_or_b32 exec_lo, exec_lo, s3
	v_sub_nc_u32_e32 v4, s22, v22
	v_add_nc_u32_e32 v3, s26, v22
	s_mov_b32 s3, exec_lo
                                        ; implicit-def: $vgpr6
	v_cmpx_ge_i32_e64 s26, v4
	s_xor_b32 s3, exec_lo, s3
	s_cbranch_execz .LBB7_51
; %bb.46:                               ;   in Loop: Header=BB7_37 Depth=3
	v_sub_nc_u32_e32 v4, s25, v22
	s_mov_b32 s29, exec_lo
                                        ; implicit-def: $vgpr6
	s_delay_alu instid0(VALU_DEP_1)
	v_cmpx_le_i32_e64 s26, v4
	s_xor_b32 s29, exec_lo, s29
; %bb.47:                               ;   in Loop: Header=BB7_37 Depth=3
	v_sub_nc_u32_e32 v3, s23, v3
	s_delay_alu instid0(VALU_DEP_1)
	v_lshlrev_b32_e32 v6, 1, v3
                                        ; implicit-def: $vgpr3
; %bb.48:                               ;   in Loop: Header=BB7_37 Depth=3
	s_and_not1_saveexec_b32 s29, s29
; %bb.49:                               ;   in Loop: Header=BB7_37 Depth=3
	v_subrev_nc_u32_e32 v3, s11, v3
	s_delay_alu instid0(VALU_DEP_1)
	v_lshl_add_u32 v6, v3, 1, 3
; %bb.50:                               ;   in Loop: Header=BB7_37 Depth=3
	s_or_b32 exec_lo, exec_lo, s29
                                        ; implicit-def: $vgpr3
.LBB7_51:                               ;   in Loop: Header=BB7_37 Depth=3
	s_and_not1_saveexec_b32 s3, s3
; %bb.52:                               ;   in Loop: Header=BB7_37 Depth=3
	v_lshl_or_b32 v6, v3, 1, 1
; %bb.53:                               ;   in Loop: Header=BB7_37 Depth=3
	s_or_b32 exec_lo, exec_lo, s3
	s_delay_alu instid0(VALU_DEP_1) | instskip(SKIP_1) | instid1(VALU_DEP_1)
	v_min_i32_e32 v3, v5, v6
	s_mov_b32 s29, exec_lo
	v_add_nc_u32_e32 v3, s10, v3
	s_delay_alu instid0(VALU_DEP_1) | instskip(NEXT) | instid1(VALU_DEP_1)
	v_ashrrev_i32_e32 v4, 31, v3
	v_lshlrev_b64 v[7:8], 2, v[3:4]
	s_delay_alu instid0(VALU_DEP_1) | instskip(NEXT) | instid1(VALU_DEP_2)
	v_add_co_u32 v9, vcc_lo, s53, v7
	v_add_co_ci_u32_e32 v10, vcc_lo, s54, v8, vcc_lo
	global_load_b32 v4, v[9:10], off
	s_waitcnt vmcnt(0)
	v_cmpx_eq_u32_e32 1, v4
	s_cbranch_execz .LBB7_36
; %bb.54:                               ;   in Loop: Header=BB7_37 Depth=3
	v_max_i32_e32 v23, v5, v6
	s_delay_alu instid0(VALU_DEP_1) | instskip(SKIP_1) | instid1(VALU_DEP_2)
	v_add_nc_u32_e32 v4, s10, v23
	v_cmp_gt_i32_e64 s3, s15, v23
	v_ashrrev_i32_e32 v5, 31, v4
	s_delay_alu instid0(VALU_DEP_1) | instskip(NEXT) | instid1(VALU_DEP_1)
	v_lshlrev_b64 v[5:6], 2, v[4:5]
	v_add_co_u32 v9, vcc_lo, s53, v5
	s_delay_alu instid0(VALU_DEP_2) | instskip(SKIP_4) | instid1(SALU_CYCLE_1)
	v_add_co_ci_u32_e32 v10, vcc_lo, s54, v6, vcc_lo
	global_load_b32 v24, v[9:10], off
	s_waitcnt vmcnt(0)
	v_cmp_eq_u32_e32 vcc_lo, 1, v24
	s_and_b32 s3, vcc_lo, s3
	s_and_b32 exec_lo, exec_lo, s3
	s_cbranch_execz .LBB7_36
; %bb.55:                               ;   in Loop: Header=BB7_37 Depth=3
	v_add_co_u32 v23, vcc_lo, s34, v7
	v_add_co_ci_u32_e32 v24, vcc_lo, s35, v8, vcc_lo
	v_add_co_u32 v25, vcc_lo, s34, v5
	v_add_co_ci_u32_e32 v26, vcc_lo, s35, v6, vcc_lo
	s_clause 0x1
	global_load_b32 v23, v[23:24], off
	global_load_b32 v24, v[25:26], off
	s_waitcnt vmcnt(0)
	v_sub_f32_e32 v23, v23, v24
	s_delay_alu instid0(VALU_DEP_1) | instskip(NEXT) | instid1(VALU_DEP_1)
	v_cmp_le_f32_e64 s3, |v23|, v21
	s_and_b32 exec_lo, exec_lo, s3
	s_cbranch_execz .LBB7_36
; %bb.56:                               ;   in Loop: Header=BB7_37 Depth=3
	v_add_co_u32 v5, vcc_lo, s38, v5
	v_add_co_ci_u32_e32 v6, vcc_lo, s39, v6, vcc_lo
	v_add_co_u32 v7, vcc_lo, s38, v7
	v_add_co_ci_u32_e32 v8, vcc_lo, s39, v8, vcc_lo
	global_load_b32 v24, v[5:6], off
	v_dual_mov_b32 v26, 1.0 :: v_dual_mov_b32 v25, 0
	global_load_b32 v23, v[7:8], off
	s_mov_b32 s30, exec_lo
	global_store_b32 v[9:10], v11, off
	s_waitcnt vmcnt(1)
	v_cmpx_neq_f32_e32 0, v24
	s_cbranch_execz .LBB7_66
; %bb.57:                               ;   in Loop: Header=BB7_37 Depth=3
                                        ; implicit-def: $vgpr25
                                        ; implicit-def: $vgpr26
	s_mov_b32 s3, exec_lo
	s_waitcnt vmcnt(0)
	v_cmpx_neq_f32_e32 0, v23
	s_xor_b32 s31, exec_lo, s3
	s_cbranch_execz .LBB7_63
; %bb.58:                               ;   in Loop: Header=BB7_37 Depth=3
	s_mov_b32 s60, exec_lo
                                        ; implicit-def: $vgpr25
                                        ; implicit-def: $vgpr26
	v_cmpx_ngt_f32_e64 |v24|, |v23|
	s_xor_b32 s60, exec_lo, s60
	s_cbranch_execz .LBB7_60
; %bb.59:                               ;   in Loop: Header=BB7_37 Depth=3
	v_div_scale_f32 v9, null, v23, v23, -v24
	v_div_scale_f32 v26, vcc_lo, -v24, v23, -v24
	s_delay_alu instid0(VALU_DEP_2) | instskip(SKIP_2) | instid1(VALU_DEP_1)
	v_rcp_f32_e32 v10, v9
	s_waitcnt_depctr 0xfff
	v_fma_f32 v25, -v9, v10, 1.0
	v_fmac_f32_e32 v10, v25, v10
	s_delay_alu instid0(VALU_DEP_1) | instskip(NEXT) | instid1(VALU_DEP_1)
	v_mul_f32_e32 v25, v26, v10
	v_fma_f32 v27, -v9, v25, v26
	s_delay_alu instid0(VALU_DEP_1) | instskip(NEXT) | instid1(VALU_DEP_1)
	v_fmac_f32_e32 v25, v27, v10
	v_fma_f32 v9, -v9, v25, v26
	s_delay_alu instid0(VALU_DEP_1) | instskip(NEXT) | instid1(VALU_DEP_1)
	v_div_fmas_f32 v9, v9, v10, v25
	v_div_fixup_f32 v9, v9, v23, -v24
	s_delay_alu instid0(VALU_DEP_1) | instskip(NEXT) | instid1(VALU_DEP_1)
	v_fma_f32 v10, v9, v9, 1.0
	v_mul_f32_e32 v25, 0x4f800000, v10
	v_cmp_gt_f32_e32 vcc_lo, 0xf800000, v10
	s_delay_alu instid0(VALU_DEP_2) | instskip(NEXT) | instid1(VALU_DEP_1)
	v_cndmask_b32_e32 v10, v10, v25, vcc_lo
	v_sqrt_f32_e32 v25, v10
	s_waitcnt_depctr 0xfff
	v_add_nc_u32_e32 v26, -1, v25
	v_add_nc_u32_e32 v27, 1, v25
	s_delay_alu instid0(VALU_DEP_2) | instskip(NEXT) | instid1(VALU_DEP_2)
	v_fma_f32 v28, -v26, v25, v10
	v_fma_f32 v29, -v27, v25, v10
	s_delay_alu instid0(VALU_DEP_2) | instskip(NEXT) | instid1(VALU_DEP_1)
	v_cmp_ge_f32_e64 s3, 0, v28
	v_cndmask_b32_e64 v25, v25, v26, s3
	s_delay_alu instid0(VALU_DEP_3) | instskip(NEXT) | instid1(VALU_DEP_1)
	v_cmp_lt_f32_e64 s3, 0, v29
	v_cndmask_b32_e64 v25, v25, v27, s3
	s_delay_alu instid0(VALU_DEP_1) | instskip(NEXT) | instid1(VALU_DEP_1)
	v_mul_f32_e32 v26, 0x37800000, v25
	v_cndmask_b32_e32 v25, v25, v26, vcc_lo
	v_cmp_class_f32_e64 vcc_lo, v10, 0x260
	s_delay_alu instid0(VALU_DEP_2) | instskip(NEXT) | instid1(VALU_DEP_1)
	v_cndmask_b32_e32 v10, v25, v10, vcc_lo
	v_div_scale_f32 v25, null, v10, v10, 1.0
	s_delay_alu instid0(VALU_DEP_1) | instskip(SKIP_2) | instid1(VALU_DEP_1)
	v_rcp_f32_e32 v26, v25
	s_waitcnt_depctr 0xfff
	v_fma_f32 v27, -v25, v26, 1.0
	v_fmac_f32_e32 v26, v27, v26
	v_div_scale_f32 v27, vcc_lo, 1.0, v10, 1.0
	s_delay_alu instid0(VALU_DEP_1) | instskip(NEXT) | instid1(VALU_DEP_1)
	v_mul_f32_e32 v28, v27, v26
	v_fma_f32 v29, -v25, v28, v27
	s_delay_alu instid0(VALU_DEP_1) | instskip(NEXT) | instid1(VALU_DEP_1)
	v_fmac_f32_e32 v28, v29, v26
	v_fma_f32 v25, -v25, v28, v27
	s_delay_alu instid0(VALU_DEP_1) | instskip(NEXT) | instid1(VALU_DEP_1)
	v_div_fmas_f32 v25, v25, v26, v28
	v_div_fixup_f32 v26, v25, v10, 1.0
	s_delay_alu instid0(VALU_DEP_1)
	v_mul_f32_e32 v25, v9, v26
.LBB7_60:                               ;   in Loop: Header=BB7_37 Depth=3
	s_and_not1_saveexec_b32 s60, s60
	s_cbranch_execz .LBB7_62
; %bb.61:                               ;   in Loop: Header=BB7_37 Depth=3
	v_div_scale_f32 v9, null, v24, v24, -v23
	v_div_scale_f32 v26, vcc_lo, -v23, v24, -v23
	s_delay_alu instid0(VALU_DEP_2) | instskip(SKIP_2) | instid1(VALU_DEP_1)
	v_rcp_f32_e32 v10, v9
	s_waitcnt_depctr 0xfff
	v_fma_f32 v25, -v9, v10, 1.0
	v_fmac_f32_e32 v10, v25, v10
	s_delay_alu instid0(VALU_DEP_1) | instskip(NEXT) | instid1(VALU_DEP_1)
	v_mul_f32_e32 v25, v26, v10
	v_fma_f32 v27, -v9, v25, v26
	s_delay_alu instid0(VALU_DEP_1) | instskip(NEXT) | instid1(VALU_DEP_1)
	v_fmac_f32_e32 v25, v27, v10
	v_fma_f32 v9, -v9, v25, v26
	s_delay_alu instid0(VALU_DEP_1) | instskip(NEXT) | instid1(VALU_DEP_1)
	v_div_fmas_f32 v9, v9, v10, v25
	v_div_fixup_f32 v9, v9, v24, -v23
	s_delay_alu instid0(VALU_DEP_1) | instskip(NEXT) | instid1(VALU_DEP_1)
	v_fma_f32 v10, v9, v9, 1.0
	v_mul_f32_e32 v25, 0x4f800000, v10
	v_cmp_gt_f32_e32 vcc_lo, 0xf800000, v10
	s_delay_alu instid0(VALU_DEP_2) | instskip(NEXT) | instid1(VALU_DEP_1)
	v_cndmask_b32_e32 v10, v10, v25, vcc_lo
	v_sqrt_f32_e32 v25, v10
	s_waitcnt_depctr 0xfff
	v_add_nc_u32_e32 v26, -1, v25
	v_add_nc_u32_e32 v27, 1, v25
	s_delay_alu instid0(VALU_DEP_2) | instskip(NEXT) | instid1(VALU_DEP_2)
	v_fma_f32 v28, -v26, v25, v10
	v_fma_f32 v29, -v27, v25, v10
	s_delay_alu instid0(VALU_DEP_2) | instskip(NEXT) | instid1(VALU_DEP_1)
	v_cmp_ge_f32_e64 s3, 0, v28
	v_cndmask_b32_e64 v25, v25, v26, s3
	s_delay_alu instid0(VALU_DEP_3) | instskip(NEXT) | instid1(VALU_DEP_1)
	v_cmp_lt_f32_e64 s3, 0, v29
	v_cndmask_b32_e64 v25, v25, v27, s3
	s_delay_alu instid0(VALU_DEP_1) | instskip(NEXT) | instid1(VALU_DEP_1)
	v_mul_f32_e32 v26, 0x37800000, v25
	v_cndmask_b32_e32 v25, v25, v26, vcc_lo
	v_cmp_class_f32_e64 vcc_lo, v10, 0x260
	s_delay_alu instid0(VALU_DEP_2) | instskip(NEXT) | instid1(VALU_DEP_1)
	v_cndmask_b32_e32 v10, v25, v10, vcc_lo
	v_div_scale_f32 v25, null, v10, v10, 1.0
	s_delay_alu instid0(VALU_DEP_1) | instskip(SKIP_2) | instid1(VALU_DEP_1)
	v_rcp_f32_e32 v26, v25
	s_waitcnt_depctr 0xfff
	v_fma_f32 v27, -v25, v26, 1.0
	v_fmac_f32_e32 v26, v27, v26
	v_div_scale_f32 v27, vcc_lo, 1.0, v10, 1.0
	s_delay_alu instid0(VALU_DEP_1) | instskip(NEXT) | instid1(VALU_DEP_1)
	v_mul_f32_e32 v28, v27, v26
	v_fma_f32 v29, -v25, v28, v27
	s_delay_alu instid0(VALU_DEP_1) | instskip(NEXT) | instid1(VALU_DEP_1)
	v_fmac_f32_e32 v28, v29, v26
	v_fma_f32 v25, -v25, v28, v27
	s_delay_alu instid0(VALU_DEP_1) | instskip(NEXT) | instid1(VALU_DEP_1)
	v_div_fmas_f32 v25, v25, v26, v28
	v_div_fixup_f32 v25, v25, v10, 1.0
	s_delay_alu instid0(VALU_DEP_1)
	v_mul_f32_e32 v26, v9, v25
.LBB7_62:                               ;   in Loop: Header=BB7_37 Depth=3
	s_or_b32 exec_lo, exec_lo, s60
	s_delay_alu instid0(VALU_DEP_1) | instskip(NEXT) | instid1(VALU_DEP_1)
	v_mul_f32_e32 v9, v24, v25
                                        ; implicit-def: $vgpr24
	v_fma_f32 v23, v23, v26, -v9
.LBB7_63:                               ;   in Loop: Header=BB7_37 Depth=3
	s_and_not1_saveexec_b32 s3, s31
; %bb.64:                               ;   in Loop: Header=BB7_37 Depth=3
	v_xor_b32_e32 v23, 0x80000000, v24
	v_dual_mov_b32 v25, 1.0 :: v_dual_mov_b32 v26, 0
; %bb.65:                               ;   in Loop: Header=BB7_37 Depth=3
	s_or_b32 exec_lo, exec_lo, s3
.LBB7_66:                               ;   in Loop: Header=BB7_37 Depth=3
	s_delay_alu instid0(SALU_CYCLE_1) | instskip(NEXT) | instid1(SALU_CYCLE_1)
	s_or_b32 exec_lo, exec_lo, s30
	s_and_not1_b32 vcc_lo, exec_lo, s50
	s_waitcnt vmcnt(0)
	s_clause 0x1
	global_store_b32 v[7:8], v23, off
	global_store_b32 v[5:6], v11, off
	s_cbranch_vccnz .LBB7_36
; %bb.67:                               ;   in Loop: Header=BB7_37 Depth=3
	v_mul_lo_u32 v4, v4, s19
	v_mul_lo_u32 v6, v3, s19
	s_mov_b32 s3, s17
	s_delay_alu instid0(VALU_DEP_2) | instskip(NEXT) | instid1(VALU_DEP_2)
	v_ashrrev_i32_e32 v5, 31, v4
	v_ashrrev_i32_e32 v7, 31, v6
	s_delay_alu instid0(VALU_DEP_2) | instskip(NEXT) | instid1(VALU_DEP_2)
	v_lshlrev_b64 v[3:4], 2, v[4:5]
	v_lshlrev_b64 v[5:6], 2, v[6:7]
	s_delay_alu instid0(VALU_DEP_2) | instskip(NEXT) | instid1(VALU_DEP_3)
	v_add_co_u32 v3, vcc_lo, s4, v3
	v_add_co_ci_u32_e32 v4, vcc_lo, s5, v4, vcc_lo
	s_delay_alu instid0(VALU_DEP_3) | instskip(NEXT) | instid1(VALU_DEP_4)
	v_add_co_u32 v5, vcc_lo, s4, v5
	v_add_co_ci_u32_e32 v6, vcc_lo, s5, v6, vcc_lo
	.p2align	6
.LBB7_68:                               ;   Parent Loop BB7_6 Depth=1
                                        ;     Parent Loop BB7_34 Depth=2
                                        ;       Parent Loop BB7_37 Depth=3
                                        ; =>      This Inner Loop Header: Depth=4
	flat_load_b32 v7, v[3:4]
	flat_load_b32 v8, v[5:6]
	s_add_i32 s3, s3, -1
	s_delay_alu instid0(SALU_CYCLE_1) | instskip(SKIP_4) | instid1(VALU_DEP_2)
	s_cmp_lg_u32 s3, 0
	s_waitcnt vmcnt(1) lgkmcnt(1)
	v_mul_f32_e32 v9, v25, v7
	v_mul_f32_e32 v7, v26, v7
	s_waitcnt vmcnt(0) lgkmcnt(0)
	v_fma_f32 v9, v26, v8, -v9
	s_delay_alu instid0(VALU_DEP_2)
	v_fmac_f32_e32 v7, v25, v8
	flat_store_b32 v[5:6], v9
	flat_store_b32 v[3:4], v7
	v_add_co_u32 v3, vcc_lo, v3, 4
	v_add_co_ci_u32_e32 v4, vcc_lo, 0, v4, vcc_lo
	v_add_co_u32 v5, vcc_lo, v5, 4
	v_add_co_ci_u32_e32 v6, vcc_lo, 0, v6, vcc_lo
	s_cbranch_scc1 .LBB7_68
	s_branch .LBB7_36
.LBB7_69:                               ;   in Loop: Header=BB7_6 Depth=1
	s_cmp_lt_i32 s15, 1
	s_cbranch_scc1 .LBB7_5
; %bb.70:                               ;   in Loop: Header=BB7_6 Depth=1
	s_mul_i32 s2, s10, s17
	s_mov_b32 s61, 0
	s_ashr_i32 s3, s2, 31
	s_delay_alu instid0(SALU_CYCLE_1) | instskip(SKIP_4) | instid1(SALU_CYCLE_1)
	s_lshl_b64 s[22:23], s[2:3], 2
	v_cmp_gt_f32_e64 s2, 0, v20
	s_add_u32 s3, s40, s22
	s_addc_u32 s60, s41, s23
	s_ashr_i32 s11, s10, 31
	s_lshl_b64 s[28:29], s[10:11], 2
	s_delay_alu instid0(SALU_CYCLE_1)
	s_add_u32 s10, s34, s28
	s_addc_u32 s11, s35, s29
	s_add_u32 s22, s38, s28
	s_addc_u32 s23, s39, s29
	;; [unrolled: 2-line block ×3, first 2 shown]
	s_add_u32 s62, s55, s28
	s_mov_b64 s[26:27], s[22:23]
	s_addc_u32 s63, s56, s29
	s_mov_b32 s28, 0
	s_set_inst_prefetch_distance 0x1
	s_branch .LBB7_73
	.p2align	6
.LBB7_71:                               ;   in Loop: Header=BB7_73 Depth=2
	s_or_b32 exec_lo, exec_lo, s64
	s_add_i32 s28, s28, 1
.LBB7_72:                               ;   in Loop: Header=BB7_73 Depth=2
	s_add_i32 s61, s61, 1
	s_add_u32 s24, s24, 4
	s_addc_u32 s25, s25, 0
	s_add_u32 s10, s10, 4
	s_addc_u32 s11, s11, 0
	;; [unrolled: 2-line block ×3, first 2 shown]
	s_cmp_lg_u32 s15, s61
	s_cbranch_scc0 .LBB7_5
.LBB7_73:                               ;   Parent Loop BB7_6 Depth=1
                                        ; =>  This Inner Loop Header: Depth=2
	global_load_b32 v3, v11, s[24:25]
	s_waitcnt vmcnt(0)
	v_cmp_ne_u32_e32 vcc_lo, 1, v3
	s_cbranch_vccnz .LBB7_72
; %bb.74:                               ;   in Loop: Header=BB7_73 Depth=2
	s_and_saveexec_b32 s64, s0
	s_cbranch_execz .LBB7_71
; %bb.75:                               ;   in Loop: Header=BB7_73 Depth=2
	global_load_b32 v3, v11, s[10:11]
	s_ashr_i32 s29, s28, 31
	v_mov_b32_e32 v4, s61
	s_lshl_b64 s[30:31], s[28:29], 2
	s_delay_alu instid0(SALU_CYCLE_1)
	s_add_u32 s66, s62, s30
	s_addc_u32 s67, s63, s31
	s_add_u32 s68, s3, s30
	s_addc_u32 s69, s60, s31
	s_cmp_eq_u32 s61, s28
	s_waitcnt vmcnt(0)
	v_cndmask_b32_e64 v3, v3, -v3, s2
	s_clause 0x1
	global_store_b32 v11, v4, s[66:67]
	global_store_b32 v11, v3, s[68:69]
	s_cbranch_scc1 .LBB7_71
; %bb.76:                               ;   in Loop: Header=BB7_73 Depth=2
	global_load_b32 v3, v11, s[26:27]
	s_add_u32 s30, s22, s30
	s_addc_u32 s31, s23, s31
	s_waitcnt vmcnt(0)
	global_store_b32 v11, v3, s[30:31]
	s_branch .LBB7_71
.LBB7_77:
	s_nop 0
	s_sendmsg sendmsg(MSG_DEALLOC_VGPRS)
	s_endpgm
.LBB7_78:
                                        ; implicit-def: $sgpr4_sgpr5
                                        ; implicit-def: $sgpr24_sgpr25
	s_branch .LBB7_2
	.section	.rodata,"a",@progbits
	.p2align	6, 0x0
	.amdhsa_kernel _ZN9rocsolver6v33100L26stedcx_mergePrepare_kernelIfEEviiPT_lS3_lS3_iilS3_S3_PiS2_
		.amdhsa_group_segment_fixed_size 0
		.amdhsa_private_segment_fixed_size 0
		.amdhsa_kernarg_size 352
		.amdhsa_user_sgpr_count 13
		.amdhsa_user_sgpr_dispatch_ptr 0
		.amdhsa_user_sgpr_queue_ptr 0
		.amdhsa_user_sgpr_kernarg_segment_ptr 1
		.amdhsa_user_sgpr_dispatch_id 0
		.amdhsa_user_sgpr_private_segment_size 0
		.amdhsa_wavefront_size32 1
		.amdhsa_uses_dynamic_stack 0
		.amdhsa_enable_private_segment 0
		.amdhsa_system_sgpr_workgroup_id_x 1
		.amdhsa_system_sgpr_workgroup_id_y 1
		.amdhsa_system_sgpr_workgroup_id_z 1
		.amdhsa_system_sgpr_workgroup_info 0
		.amdhsa_system_vgpr_workitem_id 0
		.amdhsa_next_free_vgpr 33
		.amdhsa_next_free_sgpr 70
		.amdhsa_reserve_vcc 1
		.amdhsa_float_round_mode_32 0
		.amdhsa_float_round_mode_16_64 0
		.amdhsa_float_denorm_mode_32 3
		.amdhsa_float_denorm_mode_16_64 3
		.amdhsa_dx10_clamp 1
		.amdhsa_ieee_mode 1
		.amdhsa_fp16_overflow 0
		.amdhsa_workgroup_processor_mode 1
		.amdhsa_memory_ordered 1
		.amdhsa_forward_progress 0
		.amdhsa_shared_vgpr_count 0
		.amdhsa_exception_fp_ieee_invalid_op 0
		.amdhsa_exception_fp_denorm_src 0
		.amdhsa_exception_fp_ieee_div_zero 0
		.amdhsa_exception_fp_ieee_overflow 0
		.amdhsa_exception_fp_ieee_underflow 0
		.amdhsa_exception_fp_ieee_inexact 0
		.amdhsa_exception_int_div_zero 0
	.end_amdhsa_kernel
	.section	.text._ZN9rocsolver6v33100L26stedcx_mergePrepare_kernelIfEEviiPT_lS3_lS3_iilS3_S3_PiS2_,"axG",@progbits,_ZN9rocsolver6v33100L26stedcx_mergePrepare_kernelIfEEviiPT_lS3_lS3_iilS3_S3_PiS2_,comdat
.Lfunc_end7:
	.size	_ZN9rocsolver6v33100L26stedcx_mergePrepare_kernelIfEEviiPT_lS3_lS3_iilS3_S3_PiS2_, .Lfunc_end7-_ZN9rocsolver6v33100L26stedcx_mergePrepare_kernelIfEEviiPT_lS3_lS3_iilS3_S3_PiS2_
                                        ; -- End function
	.section	.AMDGPU.csdata,"",@progbits
; Kernel info:
; codeLenInByte = 4220
; NumSgprs: 72
; NumVgprs: 33
; ScratchSize: 0
; MemoryBound: 0
; FloatMode: 240
; IeeeMode: 1
; LDSByteSize: 0 bytes/workgroup (compile time only)
; SGPRBlocks: 8
; VGPRBlocks: 4
; NumSGPRsForWavesPerEU: 72
; NumVGPRsForWavesPerEU: 33
; Occupancy: 16
; WaveLimiterHint : 1
; COMPUTE_PGM_RSRC2:SCRATCH_EN: 0
; COMPUTE_PGM_RSRC2:USER_SGPR: 13
; COMPUTE_PGM_RSRC2:TRAP_HANDLER: 0
; COMPUTE_PGM_RSRC2:TGID_X_EN: 1
; COMPUTE_PGM_RSRC2:TGID_Y_EN: 1
; COMPUTE_PGM_RSRC2:TGID_Z_EN: 1
; COMPUTE_PGM_RSRC2:TIDIG_COMP_CNT: 0
	.section	.text._ZN9rocsolver6v33100L25stedcx_mergeValues_kernelIfEEviiPT_lS3_lS3_S3_PiS2_S2_S2_,"axG",@progbits,_ZN9rocsolver6v33100L25stedcx_mergeValues_kernelIfEEviiPT_lS3_lS3_S3_PiS2_S2_S2_,comdat
	.globl	_ZN9rocsolver6v33100L25stedcx_mergeValues_kernelIfEEviiPT_lS3_lS3_S3_PiS2_S2_S2_ ; -- Begin function _ZN9rocsolver6v33100L25stedcx_mergeValues_kernelIfEEviiPT_lS3_lS3_S3_PiS2_S2_S2_
	.p2align	8
	.type	_ZN9rocsolver6v33100L25stedcx_mergeValues_kernelIfEEviiPT_lS3_lS3_S3_PiS2_S2_S2_,@function
_ZN9rocsolver6v33100L25stedcx_mergeValues_kernelIfEEviiPT_lS3_lS3_S3_PiS2_S2_S2_: ; @_ZN9rocsolver6v33100L25stedcx_mergeValues_kernelIfEEviiPT_lS3_lS3_S3_PiS2_S2_S2_
; %bb.0:
	s_clause 0x1
	s_load_b64 s[20:21], s[0:1], 0x0
	s_load_b64 s[2:3], s[0:1], 0x38
	s_waitcnt lgkmcnt(0)
	s_mul_i32 s4, s21, 5
	s_mov_b32 s22, s21
	s_add_i32 s4, s4, 2
	s_delay_alu instid0(SALU_CYCLE_1) | instskip(NEXT) | instid1(SALU_CYCLE_1)
	s_mul_i32 s4, s4, s15
	s_ashr_i32 s5, s4, 31
	s_delay_alu instid0(SALU_CYCLE_1) | instskip(NEXT) | instid1(SALU_CYCLE_1)
	s_lshl_b64 s[28:29], s[4:5], 2
	s_add_u32 s12, s2, s28
	s_addc_u32 s33, s3, s29
	s_ashr_i32 s23, s21, 31
	s_delay_alu instid0(SALU_CYCLE_1) | instskip(NEXT) | instid1(SALU_CYCLE_1)
	s_lshl_b64 s[24:25], s[22:23], 2
	s_add_u32 s26, s12, s24
	s_addc_u32 s27, s33, s25
	s_load_b32 s44, s[26:27], 0x4
	s_waitcnt lgkmcnt(0)
	s_cmp_ge_i32 s14, s44
	s_cbranch_scc1 .LBB8_245
; %bb.1:
	s_clause 0x2
	s_load_b256 s[4:11], s[0:1], 0x8
	s_load_b128 s[16:19], s[0:1], 0x28
	s_load_b32 s45, s[0:1], 0x40
	s_ashr_i32 s31, s15, 31
	s_mul_i32 s30, s21, s21
	v_lshlrev_b32_e32 v24, 1, v0
	v_cvt_f32_u32_e32 v25, v0
	v_add_nc_u32_e32 v26, s22, v0
	v_dual_mov_b32 v2, 0 :: v_dual_lshlrev_b32 v27, 2, v0
	s_waitcnt lgkmcnt(0)
	s_mul_i32 s7, s15, s7
	s_mul_hi_u32 s34, s15, s6
	s_mul_i32 s35, s31, s6
	s_add_i32 s7, s34, s7
	s_mul_i32 s6, s15, s6
	s_add_i32 s7, s7, s35
	s_mul_i32 s11, s15, s11
	s_lshl_b64 s[6:7], s[6:7], 2
	s_mul_hi_u32 s34, s15, s10
	s_add_u32 s46, s4, s6
	s_mul_i32 s31, s31, s10
	s_addc_u32 s47, s5, s7
	s_add_i32 s5, s34, s11
	s_mul_i32 s4, s15, s10
	s_add_i32 s5, s5, s31
	s_mov_b32 s31, 0
	s_lshl_b64 s[4:5], s[4:5], 2
	s_delay_alu instid0(SALU_CYCLE_1)
	s_add_u32 s48, s8, s4
	s_addc_u32 s49, s9, s5
	s_add_u32 s50, s26, s24
	s_addc_u32 s51, s27, s25
	;; [unrolled: 2-line block ×4, first 2 shown]
	s_lshl_b32 s6, s15, 1
	s_delay_alu instid0(SALU_CYCLE_1) | instskip(SKIP_4) | instid1(SALU_CYCLE_1)
	s_mul_i32 s4, s6, s21
	s_mul_i32 s6, s6, s30
	s_ashr_i32 s5, s4, 31
	s_bfm_b32 s21, s20, 0
	s_lshl_b64 s[4:5], s[4:5], 2
	s_add_u32 s56, s16, s4
	s_addc_u32 s57, s17, s5
	s_add_u32 s58, s56, s24
	s_addc_u32 s59, s57, s25
	s_ashr_i32 s7, s6, 31
	s_lshl_b64 s[4:5], s[30:31], 2
	s_lshl_b64 s[6:7], s[6:7], 2
	s_delay_alu instid0(SALU_CYCLE_1)
	s_add_u32 s4, s6, s4
	s_addc_u32 s5, s7, s5
	s_add_u32 s60, s18, s4
	s_addc_u32 s61, s19, s5
	s_not_b32 s62, s20
	s_lshl_b32 s4, 1, s20
	s_lshl_b32 s5, 2, s20
	s_add_u32 s10, s0, 0x50
	s_addc_u32 s11, s1, 0
	s_cmp_gt_i32 s4, 1
	s_mul_i32 s16, s5, s13
	s_cselect_b32 s63, -1, 0
	s_ashr_i32 s17, s16, 31
	s_cmp_gt_i32 s5, 1
	s_cselect_b32 s64, -1, 0
	s_add_u32 s0, s24, s28
	s_addc_u32 s1, s25, s29
	s_add_u32 s0, s0, s2
	s_addc_u32 s1, s1, s3
	s_add_u32 s65, s0, 12
	s_addc_u32 s66, s1, 0
	s_lshl_b64 s[18:19], s[16:17], 2
	s_delay_alu instid0(SALU_CYCLE_1)
	s_add_u32 s17, s65, s18
	s_addc_u32 s67, s66, s19
	s_lshl_b64 s[0:1], s[22:23], 4
	s_add_i32 s23, s5, -1
	s_add_u32 s0, s0, s28
	s_addc_u32 s1, s1, s29
	s_add_u32 s68, s2, s0
	s_addc_u32 s69, s3, s1
	;; [unrolled: 2-line block ×3, first 2 shown]
	s_branch .LBB8_4
.LBB8_2:                                ;   in Loop: Header=BB8_4 Depth=1
	s_or_b32 exec_lo, exec_lo, s8
.LBB8_3:                                ;   in Loop: Header=BB8_4 Depth=1
	s_add_i32 s14, s14, 8
	s_delay_alu instid0(SALU_CYCLE_1)
	s_cmp_ge_i32 s14, s44
	s_cbranch_scc1 .LBB8_245
.LBB8_4:                                ; =>This Loop Header: Depth=1
                                        ;     Child Loop BB8_12 Depth 2
                                        ;     Child Loop BB8_15 Depth 2
                                        ;     Child Loop BB8_18 Depth 2
                                        ;     Child Loop BB8_22 Depth 2
                                        ;       Child Loop BB8_25 Depth 3
                                        ;     Child Loop BB8_30 Depth 2
                                        ;       Child Loop BB8_32 Depth 3
                                        ;     Child Loop BB8_36 Depth 2
                                        ;     Child Loop BB8_40 Depth 2
                                        ;       Child Loop BB8_46 Depth 3
                                        ;       Child Loop BB8_53 Depth 3
	;; [unrolled: 1-line block ×10, first 2 shown]
                                        ;         Child Loop BB8_157 Depth 4
                                        ;         Child Loop BB8_161 Depth 4
                                        ;       Child Loop BB8_167 Depth 3
                                        ;       Child Loop BB8_183 Depth 3
	;; [unrolled: 1-line block ×5, first 2 shown]
                                        ;         Child Loop BB8_227 Depth 4
                                        ;     Child Loop BB8_238 Depth 2
                                        ;       Child Loop BB8_242 Depth 3
	s_ashr_i32 s15, s14, 31
	s_delay_alu instid0(SALU_CYCLE_1)
	s_lshl_b64 s[0:1], s[14:15], 2
	s_waitcnt_vscnt null, 0x0
	s_barrier
	s_add_u32 s0, s12, s0
	s_addc_u32 s1, s33, s1
	buffer_gl0_inv
	global_load_b64 v[3:4], v2, s[0:1]
	s_mov_b32 s2, 0
	s_waitcnt vmcnt(0)
	v_readfirstlane_b32 s0, v3
	v_readfirstlane_b32 s1, v4
	s_delay_alu instid0(VALU_DEP_1) | instskip(NEXT) | instid1(SALU_CYCLE_1)
	s_sub_i32 s1, s1, s0
	s_cmp_lt_i32 s1, 3
	s_cbranch_scc1 .LBB8_9
; %bb.5:                                ;   in Loop: Header=BB8_4 Depth=1
	s_cmp_lt_u32 s1, 5
	s_mov_b32 s2, 1
	s_cbranch_scc1 .LBB8_9
; %bb.6:                                ;   in Loop: Header=BB8_4 Depth=1
	s_cmp_lt_u32 s1, 33
	s_mov_b32 s2, 2
	s_cbranch_scc1 .LBB8_9
; %bb.7:                                ;   in Loop: Header=BB8_4 Depth=1
	s_cmpk_lt_u32 s1, 0xe9
	s_mov_b32 s2, 4
	s_cbranch_scc1 .LBB8_9
; %bb.8:                                ;   in Loop: Header=BB8_4 Depth=1
	s_cmpk_lt_u32 s1, 0x128
	s_cselect_b32 s2, 5, 7
	s_cmpk_lt_u32 s1, 0x79b
	s_cselect_b32 s2, s2, 8
.LBB8_9:                                ;   in Loop: Header=BB8_4 Depth=1
	s_delay_alu instid0(SALU_CYCLE_1) | instskip(NEXT) | instid1(SALU_CYCLE_1)
	s_add_i32 s1, s2, s62
	s_lshl_b32 s2, 1, s1
	s_cmp_gt_i32 s1, -1
	s_cselect_b32 s1, s2, 0
	s_delay_alu instid0(SALU_CYCLE_1)
	s_cmp_ge_i32 s13, s1
	s_cbranch_scc1 .LBB8_3
; %bb.10:                               ;   in Loop: Header=BB8_4 Depth=1
	s_load_b32 s6, s[10:11], 0xc
	s_ashr_i32 s1, s0, 31
	s_delay_alu instid0(SALU_CYCLE_1) | instskip(NEXT) | instid1(SALU_CYCLE_1)
	s_lshl_b64 s[0:1], s[0:1], 2
	s_add_u32 s5, s26, s0
	s_addc_u32 s4, s27, s1
	s_add_u32 s2, s50, s0
	s_addc_u32 s3, s51, s1
	s_waitcnt lgkmcnt(0)
	s_bfe_u32 s7, s6, 0xf0001
	s_delay_alu instid0(SALU_CYCLE_1) | instskip(NEXT) | instid1(VALU_DEP_1)
	v_cvt_f32_u32_e32 v1, s7
	v_rcp_iflag_f32_e32 v3, v1
	s_waitcnt_depctr 0xfff
	v_mul_f32_e32 v3, v25, v3
	s_delay_alu instid0(VALU_DEP_1) | instskip(NEXT) | instid1(VALU_DEP_1)
	v_trunc_f32_e32 v3, v3
	v_fma_f32 v4, -v3, v1, v25
	v_cvt_u32_f32_e32 v3, v3
	s_delay_alu instid0(VALU_DEP_2) | instskip(NEXT) | instid1(VALU_DEP_2)
	v_cmp_ge_f32_e64 vcc_lo, |v4|, v1
	v_add_co_ci_u32_e32 v1, vcc_lo, 0, v3, vcc_lo
	s_delay_alu instid0(VALU_DEP_1) | instskip(NEXT) | instid1(VALU_DEP_1)
	v_and_b32_e32 v1, 0x7fff, v1
	v_lshl_add_u32 v3, v1, s20, s16
	s_delay_alu instid0(VALU_DEP_1) | instskip(NEXT) | instid1(VALU_DEP_1)
	v_ashrrev_i32_e32 v4, 31, v3
	v_lshlrev_b64 v[3:4], 2, v[3:4]
	s_delay_alu instid0(VALU_DEP_1) | instskip(NEXT) | instid1(VALU_DEP_2)
	v_add_co_u32 v5, vcc_lo, s2, v3
	v_add_co_ci_u32_e32 v6, vcc_lo, s3, v4, vcc_lo
	v_add_co_u32 v7, vcc_lo, s5, v3
	v_add_co_ci_u32_e32 v8, vcc_lo, s4, v4, vcc_lo
	s_and_not1_b32 vcc_lo, exec_lo, s63
	s_clause 0x1
	global_load_b32 v1, v[5:6], off offset:8
	global_load_b32 v5, v[7:8], off offset:8
	s_cbranch_vccnz .LBB8_13
; %bb.11:                               ;   in Loop: Header=BB8_4 Depth=1
	s_add_u32 s8, s65, s0
	s_addc_u32 s9, s66, s1
	v_add_co_u32 v3, vcc_lo, s8, v3
	v_add_co_ci_u32_e32 v4, vcc_lo, s9, v4, vcc_lo
	s_mov_b32 s8, s21
.LBB8_12:                               ;   Parent Loop BB8_4 Depth=1
                                        ; =>  This Inner Loop Header: Depth=2
	global_load_b32 v6, v[3:4], off
	v_add_co_u32 v3, vcc_lo, v3, 4
	v_add_co_ci_u32_e32 v4, vcc_lo, 0, v4, vcc_lo
	s_add_i32 s8, s8, -1
	s_delay_alu instid0(SALU_CYCLE_1)
	s_cmp_eq_u32 s8, 0
	s_waitcnt vmcnt(0)
	v_add_nc_u32_e32 v5, v6, v5
	s_cbranch_scc0 .LBB8_12
.LBB8_13:                               ;   in Loop: Header=BB8_4 Depth=1
	s_waitcnt vmcnt(0)
	s_delay_alu instid0(VALU_DEP_1)
	v_add3_u32 v3, v1, v5, -1
	v_cmp_gt_u32_e32 vcc_lo, s7, v0
	s_and_b32 s15, s6, 0xffff
	s_add_u32 s6, s5, s18
	s_addc_u32 s7, s4, s19
	v_cndmask_b32_e32 v3, v1, v3, vcc_lo
	v_cndmask_b32_e64 v1, -4, 0, vcc_lo
	v_cndmask_b32_e64 v5, -1, 0, vcc_lo
	s_delay_alu instid0(VALU_DEP_3) | instskip(NEXT) | instid1(VALU_DEP_3)
	v_ashrrev_i32_e32 v4, 31, v3
	v_add_co_u32 v1, vcc_lo, s48, v1
	s_delay_alu instid0(VALU_DEP_3) | instskip(NEXT) | instid1(VALU_DEP_3)
	v_add_co_ci_u32_e32 v5, vcc_lo, s49, v5, vcc_lo
	v_lshlrev_b64 v[3:4], 2, v[3:4]
	s_delay_alu instid0(VALU_DEP_1) | instskip(NEXT) | instid1(VALU_DEP_2)
	v_add_co_u32 v3, vcc_lo, v1, v3
	v_add_co_ci_u32_e32 v4, vcc_lo, v5, v4, vcc_lo
	s_and_not1_b32 vcc_lo, exec_lo, s64
	global_load_b32 v1, v2, s[6:7] offset:8
	global_load_b32 v7, v[3:4], off
	s_waitcnt vmcnt(1)
	v_readfirstlane_b32 s72, v1
	s_cbranch_vccnz .LBB8_16
; %bb.14:                               ;   in Loop: Header=BB8_4 Depth=1
	s_add_u32 s0, s17, s0
	s_addc_u32 s1, s67, s1
	s_mov_b32 s4, s23
.LBB8_15:                               ;   Parent Loop BB8_4 Depth=1
                                        ; =>  This Inner Loop Header: Depth=2
	global_load_b32 v1, v2, s[0:1]
	s_waitcnt vmcnt(0)
	v_readfirstlane_b32 s5, v1
	s_delay_alu instid0(VALU_DEP_1) | instskip(SKIP_3) | instid1(SALU_CYCLE_1)
	s_add_i32 s72, s5, s72
	s_add_u32 s0, s0, 4
	s_addc_u32 s1, s1, 0
	s_add_i32 s4, s4, -1
	s_cmp_eq_u32 s4, 0
	s_cbranch_scc0 .LBB8_15
.LBB8_16:                               ;   in Loop: Header=BB8_4 Depth=1
	s_add_u32 s0, s2, s18
	s_addc_u32 s1, s3, s19
	s_mov_b32 s28, 0
	global_load_b32 v1, v2, s[0:1] offset:8
	s_waitcnt vmcnt(0)
	v_readfirstlane_b32 s0, v1
	s_delay_alu instid0(VALU_DEP_1) | instskip(NEXT) | instid1(SALU_CYCLE_1)
	s_ashr_i32 s1, s0, 31
	s_lshl_b64 s[30:31], s[0:1], 2
	s_delay_alu instid0(SALU_CYCLE_1)
	s_add_u32 s76, s52, s30
	s_addc_u32 s77, s53, s31
	s_cmp_gt_i32 s72, 0
	s_cselect_b32 s73, -1, 0
	s_cmp_lt_i32 s72, 1
	s_cbranch_scc1 .LBB8_19
; %bb.17:                               ;   in Loop: Header=BB8_4 Depth=1
	s_add_u32 s2, s76, 8
	s_addc_u32 s3, s77, 0
	s_mov_b32 s1, s72
.LBB8_18:                               ;   Parent Loop BB8_4 Depth=1
                                        ; =>  This Inner Loop Header: Depth=2
	global_load_b32 v1, v2, s[2:3]
	s_waitcnt vmcnt(0)
	v_readfirstlane_b32 s4, v1
	s_delay_alu instid0(VALU_DEP_1) | instskip(SKIP_1) | instid1(SALU_CYCLE_1)
	s_cmp_eq_u32 s4, 1
	s_cselect_b32 s4, -1, 0
	s_cmp_lg_u32 s4, 0
	s_addc_u32 s28, s28, 0
	s_add_i32 s1, s1, -1
	s_add_u32 s2, s2, 4
	s_addc_u32 s3, s3, 0
	s_cmp_eq_u32 s1, 0
	s_cbranch_scc0 .LBB8_18
.LBB8_19:                               ;   in Loop: Header=BB8_4 Depth=1
	s_mul_i32 s0, s0, s22
	s_delay_alu instid0(SALU_CYCLE_1) | instskip(SKIP_2) | instid1(SALU_CYCLE_1)
	s_ashr_i32 s1, s0, 31
	s_cmp_lt_i32 s28, 1
	s_cselect_b32 s78, -1, 0
	s_and_b32 vcc_lo, exec_lo, s78
	s_cbranch_vccnz .LBB8_27
; %bb.20:                               ;   in Loop: Header=BB8_4 Depth=1
	s_add_i32 s4, s28, -1
	s_lshl_b32 s5, s15, 1
	s_add_u32 s6, s68, s30
	s_addc_u32 s7, s69, s31
	s_lshl_b32 s8, s15, 3
	s_add_u32 s9, s70, s30
	s_addc_u32 s29, s71, s31
	s_lshl_b64 s[2:3], s[0:1], 2
	s_mov_b32 s34, 0
	s_add_u32 s35, s60, s2
	s_addc_u32 s36, s61, s3
	s_mov_b32 s37, 0
	s_branch .LBB8_22
.LBB8_21:                               ;   in Loop: Header=BB8_22 Depth=2
	s_set_inst_prefetch_distance 0x2
	s_or_b32 exec_lo, exec_lo, s38
	s_add_i32 s37, s37, 1
	s_not_b32 s34, s34
	s_cmp_eq_u32 s37, s28
	s_waitcnt_vscnt null, 0x0
	s_barrier
	buffer_gl0_inv
	s_cbranch_scc1 .LBB8_27
.LBB8_22:                               ;   Parent Loop BB8_4 Depth=1
                                        ; =>  This Loop Header: Depth=2
                                        ;       Child Loop BB8_25 Depth 3
	v_and_or_b32 v1, s37, 1, v24
	s_mov_b32 s38, exec_lo
	s_delay_alu instid0(VALU_DEP_1)
	v_cmpx_gt_i32_e64 s4, v1
	s_cbranch_execz .LBB8_21
; %bb.23:                               ;   in Loop: Header=BB8_22 Depth=2
	v_cndmask_b32_e64 v3, 0, 1, s34
	s_mov_b32 s39, 0
	s_delay_alu instid0(VALU_DEP_1) | instskip(NEXT) | instid1(VALU_DEP_1)
	v_add_lshl_u32 v3, v24, v3, 2
	v_add_co_u32 v8, s2, s6, v3
	s_delay_alu instid0(VALU_DEP_1) | instskip(SKIP_1) | instid1(VALU_DEP_1)
	v_add_co_ci_u32_e64 v9, null, s7, 0, s2
	v_add_co_u32 v10, s2, s9, v3
	v_add_co_ci_u32_e64 v11, null, s29, 0, s2
	v_add_co_u32 v12, s2, s35, v3
	s_delay_alu instid0(VALU_DEP_1)
	v_add_co_ci_u32_e64 v13, null, s36, 0, s2
	s_mov_b64 s[2:3], 0
	s_set_inst_prefetch_distance 0x1
	s_branch .LBB8_25
	.p2align	6
.LBB8_24:                               ;   in Loop: Header=BB8_25 Depth=3
	s_or_b32 exec_lo, exec_lo, s40
	v_add_nc_u32_e32 v1, s5, v1
	s_add_u32 s2, s2, s8
	s_addc_u32 s3, s3, 0
	s_delay_alu instid0(VALU_DEP_1) | instskip(SKIP_1) | instid1(SALU_CYCLE_1)
	v_cmp_le_i32_e32 vcc_lo, s4, v1
	s_or_b32 s39, vcc_lo, s39
	s_and_not1_b32 exec_lo, exec_lo, s39
	s_cbranch_execz .LBB8_21
.LBB8_25:                               ;   Parent Loop BB8_4 Depth=1
                                        ;     Parent Loop BB8_22 Depth=2
                                        ; =>    This Inner Loop Header: Depth=3
	v_add_co_u32 v3, vcc_lo, v12, s2
	v_add_co_ci_u32_e32 v4, vcc_lo, s3, v13, vcc_lo
	s_mov_b32 s40, exec_lo
	global_load_b64 v[5:6], v[3:4], off
	s_waitcnt vmcnt(0)
	v_cmpx_gt_f32_e32 v5, v6
	s_cbranch_execz .LBB8_24
; %bb.26:                               ;   in Loop: Header=BB8_25 Depth=3
	v_dual_mov_b32 v14, v6 :: v_dual_mov_b32 v15, v5
	v_add_co_u32 v5, vcc_lo, v8, s2
	v_add_co_ci_u32_e32 v6, vcc_lo, s3, v9, vcc_lo
	v_add_co_u32 v16, vcc_lo, v10, s2
	v_add_co_ci_u32_e32 v17, vcc_lo, s3, v11, vcc_lo
	global_store_b64 v[3:4], v[14:15], off
	global_load_b64 v[3:4], v[5:6], off offset:8
	global_load_b64 v[14:15], v[16:17], off offset:-4
	s_waitcnt vmcnt(0)
	v_dual_mov_b32 v18, v4 :: v_dual_mov_b32 v21, v14
	v_mov_b32_e32 v20, v15
	v_mov_b32_e32 v19, v3
	global_store_b64 v[16:17], v[20:21], off offset:-4
	global_store_b64 v[5:6], v[18:19], off offset:8
	s_branch .LBB8_24
.LBB8_27:                               ;   in Loop: Header=BB8_4 Depth=1
	s_lshl_b64 s[4:5], s[0:1], 2
	v_cmp_gt_i32_e64 s0, s28, v0
	s_add_u32 s74, s60, s4
	s_addc_u32 s75, s61, s5
	s_delay_alu instid0(VALU_DEP_1)
	s_and_saveexec_b32 s2, s0
	s_cbranch_execz .LBB8_34
; %bb.28:                               ;   in Loop: Header=BB8_4 Depth=1
	s_mul_i32 s3, s72, s22
	v_mov_b32_e32 v3, v26
	s_cmp_gt_i32 s3, s22
	v_mov_b32_e32 v1, v0
	s_cselect_b32 s6, -1, 0
	s_add_u32 s7, s60, s4
	s_addc_u32 s8, s61, s5
	s_mov_b32 s9, 0
	s_set_inst_prefetch_distance 0x1
	s_branch .LBB8_30
	.p2align	6
.LBB8_29:                               ;   in Loop: Header=BB8_30 Depth=2
	v_add_nc_u32_e32 v1, s15, v1
	v_add_nc_u32_e32 v3, s15, v3
	s_delay_alu instid0(VALU_DEP_2) | instskip(SKIP_1) | instid1(SALU_CYCLE_1)
	v_cmp_le_i32_e32 vcc_lo, s28, v1
	s_or_b32 s9, vcc_lo, s9
	s_and_not1_b32 exec_lo, exec_lo, s9
	s_cbranch_execz .LBB8_34
.LBB8_30:                               ;   Parent Loop BB8_4 Depth=1
                                        ; =>  This Loop Header: Depth=2
                                        ;       Child Loop BB8_32 Depth 3
	s_and_not1_b32 vcc_lo, exec_lo, s6
	s_cbranch_vccnz .LBB8_29
; %bb.31:                               ;   in Loop: Header=BB8_30 Depth=2
	v_lshlrev_b64 v[4:5], 2, v[1:2]
	v_add_nc_u32_e32 v8, s3, v1
	v_add_nc_u32_e32 v9, s22, v1
	s_mov_b32 s29, 0
	s_delay_alu instid0(VALU_DEP_3) | instskip(NEXT) | instid1(VALU_DEP_4)
	v_add_co_u32 v4, vcc_lo, s74, v4
	v_add_co_ci_u32_e32 v5, vcc_lo, s75, v5, vcc_lo
	global_load_b32 v6, v[4:5], off
	v_ashrrev_i32_e32 v4, 31, v3
	s_delay_alu instid0(VALU_DEP_1) | instskip(NEXT) | instid1(VALU_DEP_1)
	v_lshlrev_b64 v[4:5], 2, v[3:4]
	v_add_co_u32 v4, vcc_lo, s7, v4
	s_delay_alu instid0(VALU_DEP_2)
	v_add_co_ci_u32_e32 v5, vcc_lo, s8, v5, vcc_lo
.LBB8_32:                               ;   Parent Loop BB8_4 Depth=1
                                        ;     Parent Loop BB8_30 Depth=2
                                        ; =>    This Inner Loop Header: Depth=3
	v_add_nc_u32_e32 v9, s22, v9
	s_waitcnt vmcnt(0)
	global_store_b32 v[4:5], v6, off
	v_add_co_u32 v4, s1, v4, s24
	s_delay_alu instid0(VALU_DEP_1) | instskip(SKIP_2) | instid1(SALU_CYCLE_1)
	v_add_co_ci_u32_e64 v5, s1, s25, v5, s1
	v_cmp_ge_i32_e32 vcc_lo, v9, v8
	s_or_b32 s29, vcc_lo, s29
	s_and_not1_b32 exec_lo, exec_lo, s29
	s_cbranch_execnz .LBB8_32
; %bb.33:                               ;   in Loop: Header=BB8_30 Depth=2
	s_or_b32 exec_lo, exec_lo, s29
	s_branch .LBB8_29
.LBB8_34:                               ;   in Loop: Header=BB8_4 Depth=1
	s_set_inst_prefetch_distance 0x2
	s_or_b32 exec_lo, exec_lo, s2
	v_cmp_gt_i32_e32 vcc_lo, s72, v0
	s_and_saveexec_b32 s3, vcc_lo
	s_cbranch_execz .LBB8_37
; %bb.35:                               ;   in Loop: Header=BB8_4 Depth=1
	v_add_co_u32 v1, s1, v27, s30
	s_delay_alu instid0(VALU_DEP_1)
	v_add_co_ci_u32_e64 v3, null, 0, s31, s1
	v_mov_b32_e32 v4, v0
	s_lshl_b32 s6, s15, 2
	s_mov_b32 s7, 0
	.p2align	6
.LBB8_36:                               ;   Parent Loop BB8_4 Depth=1
                                        ; =>  This Inner Loop Header: Depth=2
	v_add_co_u32 v5, s1, s46, v1
	s_delay_alu instid0(VALU_DEP_1) | instskip(SKIP_3) | instid1(VALU_DEP_1)
	v_add_co_ci_u32_e64 v6, s1, s47, v3, s1
	v_add_nc_u32_e32 v4, s15, v4
	global_load_b32 v8, v[5:6], off
	v_add_co_u32 v5, s1, s58, v1
	v_add_co_ci_u32_e64 v6, s1, s59, v3, s1
	v_cmp_le_i32_e64 s1, s72, v4
	v_add_co_u32 v1, s2, v1, s6
	s_delay_alu instid0(VALU_DEP_1) | instskip(NEXT) | instid1(VALU_DEP_3)
	v_add_co_ci_u32_e64 v3, s2, 0, v3, s2
	s_or_b32 s7, s1, s7
	s_waitcnt vmcnt(0)
	global_store_b32 v[5:6], v8, off
	s_and_not1_b32 exec_lo, exec_lo, s7
	s_cbranch_execnz .LBB8_36
.LBB8_37:                               ;   in Loop: Header=BB8_4 Depth=1
	s_or_b32 exec_lo, exec_lo, s3
	s_add_u32 s34, s56, s30
	s_addc_u32 s35, s57, s31
	s_waitcnt_vscnt null, 0x0
	s_barrier
	buffer_gl0_inv
	s_and_saveexec_b32 s79, vcc_lo
	s_cbranch_execz .LBB8_233
; %bb.38:                               ;   in Loop: Header=BB8_4 Depth=1
	v_add_f32_e32 v1, v7, v7
	s_add_u32 s80, s58, s30
	s_addc_u32 s81, s59, s31
	s_add_i32 s36, s28, -1
	s_add_i32 s82, s28, -2
	v_cmp_gt_f32_e64 s1, 0, v1
	s_cmp_gt_i32 s28, 2
	s_mov_b32 s87, 0
	s_cselect_b32 s83, -1, 0
	s_ashr_i32 s29, s28, 31
	v_cndmask_b32_e64 v28, v1, -v1, s1
	s_lshl_b64 s[38:39], s[28:29], 2
	s_delay_alu instid0(SALU_CYCLE_1) | instskip(SKIP_1) | instid1(VALU_DEP_1)
	s_add_u32 s40, s34, s38
	s_addc_u32 s41, s35, s39
	v_div_scale_f32 v1, null, v28, v28, 1.0
	v_div_scale_f32 v5, vcc_lo, 1.0, v28, 1.0
	s_cmp_gt_i32 s28, 1
	s_delay_alu instid0(VALU_DEP_2)
	v_rcp_f32_e32 v3, v1
	s_cselect_b32 s29, -1, 0
	s_add_u32 s84, s76, 8
	s_addc_u32 s85, s77, 0
	s_ashr_i32 s37, s36, 31
	v_mul_f32_e32 v29, 0.5, v28
	s_lshl_b64 s[2:3], s[36:37], 2
	s_delay_alu instid0(SALU_CYCLE_1)
	s_add_u32 s4, s4, s2
	s_addc_u32 s5, s5, s3
	s_waitcnt_depctr 0xfff
	v_fma_f32 v4, -v1, v3, 1.0
	s_add_u32 s37, s60, s4
	s_addc_u32 s86, s61, s5
	s_add_u32 s2, s30, s2
	s_addc_u32 s3, s31, s3
	v_fmac_f32_e32 v3, v4, v3
	s_add_u32 s42, s56, s2
	s_addc_u32 s43, s57, s3
	s_delay_alu instid0(VALU_DEP_1) | instskip(NEXT) | instid1(VALU_DEP_1)
	v_mul_f32_e32 v4, v5, v3
	v_fma_f32 v6, -v1, v4, v5
	s_delay_alu instid0(VALU_DEP_1) | instskip(NEXT) | instid1(VALU_DEP_1)
	v_fmac_f32_e32 v4, v6, v3
	v_fma_f32 v1, -v1, v4, v5
	s_delay_alu instid0(VALU_DEP_1) | instskip(NEXT) | instid1(VALU_DEP_1)
	v_div_fmas_f32 v1, v1, v3, v4
	v_div_fixup_f32 v30, v1, v28, 1.0
	v_mov_b32_e32 v1, v0
	s_delay_alu instid0(VALU_DEP_2)
	v_add_f32_e32 v31, v30, v30
	s_branch .LBB8_40
.LBB8_39:                               ;   in Loop: Header=BB8_40 Depth=2
	s_or_b32 exec_lo, exec_lo, s88
	v_add_nc_u32_e32 v1, s15, v1
	s_delay_alu instid0(VALU_DEP_1) | instskip(SKIP_1) | instid1(SALU_CYCLE_1)
	v_cmp_le_i32_e32 vcc_lo, s72, v1
	s_or_b32 s87, vcc_lo, s87
	s_and_not1_b32 exec_lo, exec_lo, s87
	s_cbranch_execz .LBB8_233
.LBB8_40:                               ;   Parent Loop BB8_4 Depth=1
                                        ; =>  This Loop Header: Depth=2
                                        ;       Child Loop BB8_46 Depth 3
                                        ;       Child Loop BB8_53 Depth 3
	;; [unrolled: 1-line block ×10, first 2 shown]
                                        ;         Child Loop BB8_157 Depth 4
                                        ;         Child Loop BB8_161 Depth 4
                                        ;       Child Loop BB8_167 Depth 3
                                        ;       Child Loop BB8_183 Depth 3
	;; [unrolled: 1-line block ×5, first 2 shown]
                                        ;         Child Loop BB8_227 Depth 4
	s_delay_alu instid0(VALU_DEP_2) | instskip(SKIP_1) | instid1(VALU_DEP_1)
	v_lshlrev_b64 v[3:4], 2, v[1:2]
	s_mov_b32 s88, exec_lo
	v_add_co_u32 v5, vcc_lo, s84, v3
	s_delay_alu instid0(VALU_DEP_2)
	v_add_co_ci_u32_e32 v6, vcc_lo, s85, v4, vcc_lo
	global_load_b32 v5, v[5:6], off
	s_waitcnt vmcnt(0)
	v_cmpx_eq_u32_e32 1, v5
	s_cbranch_execz .LBB8_39
; %bb.41:                               ;   in Loop: Header=BB8_40 Depth=2
	v_mul_lo_u32 v5, v1, s22
	s_and_not1_b32 vcc_lo, exec_lo, s78
	s_cbranch_vccnz .LBB8_43
; %bb.42:                               ;   in Loop: Header=BB8_40 Depth=2
	v_mul_lo_u32 v18, v1, s22
	s_mov_b32 s2, 0
	s_mov_b32 s3, 0
	s_branch .LBB8_44
.LBB8_43:                               ;   in Loop: Header=BB8_40 Depth=2
	s_mov_b32 s2, -1
                                        ; implicit-def: $sgpr3
                                        ; implicit-def: $vgpr18
.LBB8_44:                               ;   in Loop: Header=BB8_40 Depth=2
	v_add_co_u32 v3, vcc_lo, s80, v3
	v_add_co_ci_u32_e32 v4, vcc_lo, s81, v4, vcc_lo
	v_mov_b32_e32 v12, s3
	s_and_not1_b32 vcc_lo, exec_lo, s2
	s_cbranch_vccnz .LBB8_48
; %bb.45:                               ;   in Loop: Header=BB8_40 Depth=2
	global_load_b32 v6, v[3:4], off
	v_dual_mov_b32 v12, 0 :: v_dual_mov_b32 v7, s28
	s_mov_b32 s3, 0
	s_waitcnt vmcnt(0)
	v_cndmask_b32_e64 v6, v6, -v6, s1
	.p2align	6
.LBB8_46:                               ;   Parent Loop BB8_4 Depth=1
                                        ;     Parent Loop BB8_40 Depth=2
                                        ; =>    This Inner Loop Header: Depth=3
	s_delay_alu instid0(VALU_DEP_2) | instskip(NEXT) | instid1(VALU_DEP_1)
	v_lshrrev_b32_e32 v10, 1, v7
	v_add_nc_u32_e32 v11, v12, v10
	v_xad_u32 v7, v10, -1, v7
	s_delay_alu instid0(VALU_DEP_2) | instskip(NEXT) | instid1(VALU_DEP_1)
	v_add_nc_u32_e32 v8, v11, v5
	v_ashrrev_i32_e32 v9, 31, v8
	s_delay_alu instid0(VALU_DEP_1) | instskip(NEXT) | instid1(VALU_DEP_1)
	v_lshlrev_b64 v[8:9], 2, v[8:9]
	v_add_co_u32 v8, vcc_lo, s74, v8
	s_delay_alu instid0(VALU_DEP_2) | instskip(SKIP_4) | instid1(VALU_DEP_1)
	v_add_co_ci_u32_e32 v9, vcc_lo, s75, v9, vcc_lo
	global_load_b32 v8, v[8:9], off
	s_waitcnt vmcnt(0)
	v_cmp_lt_f32_e32 vcc_lo, v8, v6
	v_add_nc_u32_e32 v8, 1, v11
	v_dual_cndmask_b32 v7, v10, v7 :: v_dual_cndmask_b32 v12, v12, v8
	s_delay_alu instid0(VALU_DEP_1) | instskip(NEXT) | instid1(VALU_DEP_1)
	v_cmp_gt_i32_e64 s2, 1, v7
	s_or_b32 s3, s2, s3
	s_delay_alu instid0(SALU_CYCLE_1)
	s_and_not1_b32 exec_lo, exec_lo, s3
	s_cbranch_execnz .LBB8_46
; %bb.47:                               ;   in Loop: Header=BB8_40 Depth=2
	s_or_b32 exec_lo, exec_lo, s3
	v_mov_b32_e32 v18, v5
.LBB8_48:                               ;   in Loop: Header=BB8_40 Depth=2
	s_delay_alu instid0(VALU_DEP_1) | instskip(NEXT) | instid1(VALU_DEP_1)
	v_ashrrev_i32_e32 v19, 31, v18
                                        ; implicit-def: $vgpr34
	v_lshlrev_b64 v[16:17], 2, v[18:19]
	s_delay_alu instid0(VALU_DEP_1) | instskip(NEXT) | instid1(VALU_DEP_1)
	v_add_co_u32 v5, s2, s74, v16
	v_add_co_ci_u32_e64 v6, s2, s75, v17, s2
	s_mov_b32 s2, exec_lo
	v_cmpx_ne_u32_e64 s36, v12
	s_xor_b32 s89, exec_lo, s2
	s_cbranch_execnz .LBB8_51
; %bb.49:                               ;   in Loop: Header=BB8_40 Depth=2
	s_and_not1_saveexec_b32 s5, s89
	s_cbranch_execnz .LBB8_165
.LBB8_50:                               ;   in Loop: Header=BB8_40 Depth=2
	s_or_b32 exec_lo, exec_lo, s5
	global_store_b32 v[3:4], v34, off
	s_and_b32 exec_lo, exec_lo, s1
	s_cbranch_execz .LBB8_39
	s_branch .LBB8_232
.LBB8_51:                               ;   in Loop: Header=BB8_40 Depth=2
	v_mov_b32_e32 v13, v2
	v_mov_b32_e32 v15, 0
	s_mov_b32 s3, exec_lo
	s_delay_alu instid0(VALU_DEP_2) | instskip(NEXT) | instid1(VALU_DEP_1)
	v_lshlrev_b64 v[9:10], 2, v[12:13]
	v_add_co_u32 v7, vcc_lo, v5, v9
	s_delay_alu instid0(VALU_DEP_2) | instskip(SKIP_3) | instid1(VALU_DEP_1)
	v_add_co_ci_u32_e32 v8, vcc_lo, v6, v10, vcc_lo
	global_load_b64 v[20:21], v[7:8], off
	s_waitcnt vmcnt(0)
	v_add_f32_e32 v11, v20, v21
	v_mul_f32_e32 v22, 0.5, v11
	v_cmpx_lt_i32_e32 0, v12
	s_cbranch_execz .LBB8_55
; %bb.52:                               ;   in Loop: Header=BB8_40 Depth=2
	v_dual_mov_b32 v15, 0 :: v_dual_mov_b32 v14, v6
	v_mov_b32_e32 v13, v5
	v_mov_b32_e32 v11, v12
	s_mov_b32 s6, 0
	s_mov_b64 s[4:5], s[34:35]
	s_set_inst_prefetch_distance 0x1
	.p2align	6
.LBB8_53:                               ;   Parent Loop BB8_4 Depth=1
                                        ;     Parent Loop BB8_40 Depth=2
                                        ; =>    This Inner Loop Header: Depth=3
	global_load_b32 v23, v[13:14], off
	global_load_b32 v32, v2, s[4:5]
	s_add_u32 s4, s4, 4
	s_addc_u32 s5, s5, 0
	v_add_nc_u32_e32 v11, -1, v11
	s_delay_alu instid0(VALU_DEP_1) | instskip(NEXT) | instid1(VALU_DEP_1)
	v_cmp_eq_u32_e64 s2, 0, v11
	s_or_b32 s6, s2, s6
	s_waitcnt vmcnt(1)
	v_sub_f32_e32 v23, v23, v22
	s_waitcnt vmcnt(0)
	s_delay_alu instid0(VALU_DEP_1) | instskip(SKIP_1) | instid1(VALU_DEP_2)
	v_div_scale_f32 v33, null, v23, v23, v32
	v_div_scale_f32 v36, vcc_lo, v32, v23, v32
	v_rcp_f32_e32 v34, v33
	s_waitcnt_depctr 0xfff
	v_fma_f32 v35, -v33, v34, 1.0
	s_delay_alu instid0(VALU_DEP_1) | instskip(NEXT) | instid1(VALU_DEP_1)
	v_fmac_f32_e32 v34, v35, v34
	v_mul_f32_e32 v35, v36, v34
	s_delay_alu instid0(VALU_DEP_1) | instskip(NEXT) | instid1(VALU_DEP_1)
	v_fma_f32 v37, -v33, v35, v36
	v_fmac_f32_e32 v35, v37, v34
	s_delay_alu instid0(VALU_DEP_1) | instskip(NEXT) | instid1(VALU_DEP_1)
	v_fma_f32 v33, -v33, v35, v36
	v_div_fmas_f32 v33, v33, v34, v35
	v_add_co_u32 v13, vcc_lo, v13, 4
	v_add_co_ci_u32_e32 v14, vcc_lo, 0, v14, vcc_lo
	s_delay_alu instid0(VALU_DEP_3) | instskip(NEXT) | instid1(VALU_DEP_1)
	v_div_fixup_f32 v23, v33, v23, v32
	v_fmac_f32_e32 v15, v32, v23
	s_and_not1_b32 exec_lo, exec_lo, s6
	s_cbranch_execnz .LBB8_53
; %bb.54:                               ;   in Loop: Header=BB8_40 Depth=2
	s_set_inst_prefetch_distance 0x2
	s_or_b32 exec_lo, exec_lo, s6
.LBB8_55:                               ;   in Loop: Header=BB8_40 Depth=2
	s_delay_alu instid0(SALU_CYCLE_1) | instskip(SKIP_3) | instid1(VALU_DEP_2)
	s_or_b32 exec_lo, exec_lo, s3
	v_add_nc_u32_e32 v11, 1, v12
	v_mov_b32_e32 v23, 0
	s_mov_b32 s3, exec_lo
	v_cmpx_gt_i32_e64 s36, v11
	s_cbranch_execz .LBB8_59
; %bb.56:                               ;   in Loop: Header=BB8_40 Depth=2
	v_lshlrev_b64 v[13:14], 2, v[18:19]
	v_mov_b32_e32 v23, 0
	s_mov_b32 s6, 0
	s_mov_b64 s[4:5], s[42:43]
	s_mov_b32 s7, s36
	s_delay_alu instid0(VALU_DEP_2)
	v_add_co_u32 v13, vcc_lo, s37, v13
	v_add_co_ci_u32_e32 v14, vcc_lo, s86, v14, vcc_lo
	s_set_inst_prefetch_distance 0x1
	.p2align	6
.LBB8_57:                               ;   Parent Loop BB8_4 Depth=1
                                        ;     Parent Loop BB8_40 Depth=2
                                        ; =>    This Inner Loop Header: Depth=3
	global_load_b32 v32, v[13:14], off
	global_load_b32 v33, v2, s[4:5]
	s_add_i32 s7, s7, -1
	s_add_u32 s4, s4, -4
	v_cmp_le_i32_e64 s2, s7, v11
	s_addc_u32 s5, s5, -1
	s_delay_alu instid0(VALU_DEP_1) | instskip(SKIP_3) | instid1(VALU_DEP_1)
	s_or_b32 s6, s2, s6
	s_waitcnt vmcnt(1)
	v_sub_f32_e32 v32, v32, v22
	s_waitcnt vmcnt(0)
	v_div_scale_f32 v34, null, v32, v32, v33
	v_div_scale_f32 v37, vcc_lo, v33, v32, v33
	s_delay_alu instid0(VALU_DEP_2) | instskip(SKIP_2) | instid1(VALU_DEP_1)
	v_rcp_f32_e32 v35, v34
	s_waitcnt_depctr 0xfff
	v_fma_f32 v36, -v34, v35, 1.0
	v_fmac_f32_e32 v35, v36, v35
	s_delay_alu instid0(VALU_DEP_1) | instskip(NEXT) | instid1(VALU_DEP_1)
	v_mul_f32_e32 v36, v37, v35
	v_fma_f32 v38, -v34, v36, v37
	s_delay_alu instid0(VALU_DEP_1) | instskip(NEXT) | instid1(VALU_DEP_1)
	v_fmac_f32_e32 v36, v38, v35
	v_fma_f32 v34, -v34, v36, v37
	s_delay_alu instid0(VALU_DEP_1) | instskip(SKIP_2) | instid1(VALU_DEP_3)
	v_div_fmas_f32 v34, v34, v35, v36
	v_add_co_u32 v13, vcc_lo, v13, -4
	v_add_co_ci_u32_e32 v14, vcc_lo, -1, v14, vcc_lo
	v_div_fixup_f32 v32, v34, v32, v33
	s_delay_alu instid0(VALU_DEP_1)
	v_fmac_f32_e32 v23, v33, v32
	s_and_not1_b32 exec_lo, exec_lo, s6
	s_cbranch_execnz .LBB8_57
; %bb.58:                               ;   in Loop: Header=BB8_40 Depth=2
	s_set_inst_prefetch_distance 0x2
	s_or_b32 exec_lo, exec_lo, s6
.LBB8_59:                               ;   in Loop: Header=BB8_40 Depth=2
	s_delay_alu instid0(SALU_CYCLE_1)
	s_or_b32 exec_lo, exec_lo, s3
	v_add_co_u32 v9, vcc_lo, s34, v9
	v_add_co_ci_u32_e32 v10, vcc_lo, s35, v10, vcc_lo
                                        ; implicit-def: $sgpr4
	v_add_f32_e32 v15, v30, v15
	global_load_b64 v[32:33], v[9:10], off
	s_waitcnt vmcnt(0)
	v_mul_f32_e32 v14, v32, v32
	v_sub_f32_e32 v32, v21, v20
	s_delay_alu instid0(VALU_DEP_2) | instskip(NEXT) | instid1(VALU_DEP_1)
	v_fma_f32 v13, v33, v33, -v14
	v_add_f32_e32 v22, v13, v13
	s_delay_alu instid0(VALU_DEP_1) | instskip(SKIP_1) | instid1(VALU_DEP_2)
	v_div_scale_f32 v13, null, v32, v32, v22
	v_div_scale_f32 v36, vcc_lo, v22, v32, v22
	v_rcp_f32_e32 v34, v13
	s_waitcnt_depctr 0xfff
	v_fma_f32 v35, -v13, v34, 1.0
	s_delay_alu instid0(VALU_DEP_1) | instskip(NEXT) | instid1(VALU_DEP_1)
	v_fmac_f32_e32 v34, v35, v34
	v_mul_f32_e32 v35, v36, v34
	s_delay_alu instid0(VALU_DEP_1) | instskip(NEXT) | instid1(VALU_DEP_1)
	v_fma_f32 v37, -v13, v35, v36
	v_fmac_f32_e32 v35, v37, v34
	s_delay_alu instid0(VALU_DEP_1) | instskip(NEXT) | instid1(VALU_DEP_1)
	v_fma_f32 v13, -v13, v35, v36
                                        ; implicit-def: $vgpr36
	v_div_fmas_f32 v34, v13, v34, v35
	v_add_f32_e32 v13, v15, v23
                                        ; implicit-def: $vgpr35
	s_delay_alu instid0(VALU_DEP_2) | instskip(NEXT) | instid1(VALU_DEP_1)
	v_div_fixup_f32 v15, v34, v32, v22
                                        ; implicit-def: $vgpr34
	v_add_f32_e32 v22, v13, v15
	v_mul_f32_e32 v15, v33, v33
	s_delay_alu instid0(VALU_DEP_2) | instskip(SKIP_2) | instid1(VALU_DEP_2)
	v_cmp_lt_f32_e64 s2, 0, v22
	v_cmp_nlt_f32_e64 s3, 0, v22
	v_mul_f32_e32 v22, v32, v13
	s_and_saveexec_b32 s5, s3
	s_delay_alu instid0(SALU_CYCLE_1)
	s_xor_b32 s5, exec_lo, s5
	s_cbranch_execz .LBB8_65
; %bb.60:                               ;   in Loop: Header=BB8_40 Depth=2
	v_mul_f32_e32 v12, v32, v15
	v_sub_f32_e32 v14, v22, v14
	s_delay_alu instid0(VALU_DEP_1) | instskip(NEXT) | instid1(VALU_DEP_3)
	v_sub_f32_e32 v14, v14, v15
	v_mul_f32_e32 v22, 4.0, v12
	s_delay_alu instid0(VALU_DEP_1) | instskip(NEXT) | instid1(VALU_DEP_1)
	v_mul_f32_e32 v15, v13, v22
	v_fmac_f32_e32 v15, v14, v14
	s_delay_alu instid0(VALU_DEP_1) | instskip(SKIP_1) | instid1(VALU_DEP_1)
	v_mul_f32_e64 v22, 0x4f800000, |v15|
	v_cmp_gt_f32_e64 vcc_lo, 0xf800000, |v15|
	v_cndmask_b32_e64 v15, |v15|, v22, vcc_lo
	s_delay_alu instid0(VALU_DEP_1) | instskip(SKIP_3) | instid1(VALU_DEP_2)
	v_sqrt_f32_e32 v22, v15
	s_waitcnt_depctr 0xfff
	v_add_nc_u32_e32 v23, -1, v22
	v_add_nc_u32_e32 v33, 1, v22
	v_fma_f32 v34, -v23, v22, v15
	s_delay_alu instid0(VALU_DEP_2) | instskip(NEXT) | instid1(VALU_DEP_2)
	v_fma_f32 v35, -v33, v22, v15
	v_cmp_ge_f32_e64 s4, 0, v34
	s_delay_alu instid0(VALU_DEP_1) | instskip(NEXT) | instid1(VALU_DEP_3)
	v_cndmask_b32_e64 v22, v22, v23, s4
	v_cmp_lt_f32_e64 s4, 0, v35
                                        ; implicit-def: $vgpr35
	s_delay_alu instid0(VALU_DEP_1) | instskip(SKIP_1) | instid1(VALU_DEP_1)
	v_cndmask_b32_e64 v22, v22, v33, s4
	s_mov_b32 s4, exec_lo
	v_mul_f32_e32 v23, 0x37800000, v22
	s_delay_alu instid0(VALU_DEP_1) | instskip(SKIP_1) | instid1(VALU_DEP_2)
	v_cndmask_b32_e32 v22, v22, v23, vcc_lo
	v_cmp_class_f32_e64 vcc_lo, v15, 0x260
	v_cndmask_b32_e32 v15, v22, v15, vcc_lo
	v_cmpx_ngt_f32_e32 0, v14
	s_xor_b32 s4, exec_lo, s4
	s_cbranch_execz .LBB8_62
; %bb.61:                               ;   in Loop: Header=BB8_40 Depth=2
	s_delay_alu instid0(VALU_DEP_2) | instskip(NEXT) | instid1(VALU_DEP_1)
	v_dual_add_f32 v12, v14, v15 :: v_dual_add_f32 v13, v13, v13
	v_div_scale_f32 v14, null, v13, v13, -v12
	s_delay_alu instid0(VALU_DEP_1) | instskip(SKIP_2) | instid1(VALU_DEP_1)
	v_rcp_f32_e32 v15, v14
	s_waitcnt_depctr 0xfff
	v_fma_f32 v22, -v14, v15, 1.0
	v_fmac_f32_e32 v15, v22, v15
	v_div_scale_f32 v22, vcc_lo, -v12, v13, -v12
	s_delay_alu instid0(VALU_DEP_1) | instskip(NEXT) | instid1(VALU_DEP_1)
	v_mul_f32_e32 v23, v22, v15
	v_fma_f32 v33, -v14, v23, v22
	s_delay_alu instid0(VALU_DEP_1) | instskip(NEXT) | instid1(VALU_DEP_1)
	v_fmac_f32_e32 v23, v33, v15
	v_fma_f32 v14, -v14, v23, v22
	s_delay_alu instid0(VALU_DEP_1) | instskip(NEXT) | instid1(VALU_DEP_1)
	v_div_fmas_f32 v14, v14, v15, v23
                                        ; implicit-def: $vgpr15
	v_div_fixup_f32 v35, v14, v13, -v12
                                        ; implicit-def: $vgpr12
                                        ; implicit-def: $vgpr14
.LBB8_62:                               ;   in Loop: Header=BB8_40 Depth=2
	s_and_not1_saveexec_b32 s4, s4
	s_cbranch_execz .LBB8_64
; %bb.63:                               ;   in Loop: Header=BB8_40 Depth=2
	v_dual_add_f32 v12, v12, v12 :: v_dual_sub_f32 v13, v14, v15
	s_delay_alu instid0(VALU_DEP_1) | instskip(NEXT) | instid1(VALU_DEP_1)
	v_div_scale_f32 v14, null, v13, v13, v12
	v_rcp_f32_e32 v15, v14
	s_waitcnt_depctr 0xfff
	v_fma_f32 v22, -v14, v15, 1.0
	s_delay_alu instid0(VALU_DEP_1) | instskip(SKIP_1) | instid1(VALU_DEP_1)
	v_fmac_f32_e32 v15, v22, v15
	v_div_scale_f32 v22, vcc_lo, v12, v13, v12
	v_mul_f32_e32 v23, v22, v15
	s_delay_alu instid0(VALU_DEP_1) | instskip(NEXT) | instid1(VALU_DEP_1)
	v_fma_f32 v33, -v14, v23, v22
	v_fmac_f32_e32 v23, v33, v15
	s_delay_alu instid0(VALU_DEP_1) | instskip(NEXT) | instid1(VALU_DEP_1)
	v_fma_f32 v14, -v14, v23, v22
	v_div_fmas_f32 v14, v14, v15, v23
	s_delay_alu instid0(VALU_DEP_1)
	v_div_fixup_f32 v35, v14, v13, v12
.LBB8_64:                               ;   in Loop: Header=BB8_40 Depth=2
	s_or_b32 exec_lo, exec_lo, s4
	v_mul_f32_e32 v36, -0.5, v32
	s_delay_alu instid0(VALU_DEP_2)
	v_add_f32_e32 v34, v21, v35
	s_mov_b32 s4, 0
                                        ; implicit-def: $vgpr22
                                        ; implicit-def: $vgpr14
                                        ; implicit-def: $vgpr15
                                        ; implicit-def: $vgpr13
                                        ; implicit-def: $vgpr12
.LBB8_65:                               ;   in Loop: Header=BB8_40 Depth=2
	s_or_saveexec_b32 s5, s5
	v_mov_b32_e32 v37, s4
	v_mov_b32_e32 v33, v21
	s_xor_b32 exec_lo, exec_lo, s5
	s_cbranch_execz .LBB8_71
; %bb.66:                               ;   in Loop: Header=BB8_40 Depth=2
	v_mul_f32_e32 v11, v32, v14
	v_add_f32_e32 v14, v22, v14
	s_delay_alu instid0(VALU_DEP_1) | instskip(NEXT) | instid1(VALU_DEP_3)
	v_add_f32_e32 v14, v14, v15
	v_mul_f32_e32 v22, -4.0, v11
	s_delay_alu instid0(VALU_DEP_1) | instskip(NEXT) | instid1(VALU_DEP_1)
	v_mul_f32_e32 v15, v13, v22
	v_fmac_f32_e32 v15, v14, v14
	s_delay_alu instid0(VALU_DEP_1) | instskip(SKIP_1) | instid1(VALU_DEP_1)
	v_mul_f32_e64 v22, 0x4f800000, |v15|
	v_cmp_gt_f32_e64 vcc_lo, 0xf800000, |v15|
	v_cndmask_b32_e64 v15, |v15|, v22, vcc_lo
	s_delay_alu instid0(VALU_DEP_1) | instskip(SKIP_3) | instid1(VALU_DEP_2)
	v_sqrt_f32_e32 v22, v15
	s_waitcnt_depctr 0xfff
	v_add_nc_u32_e32 v23, -1, v22
	v_add_nc_u32_e32 v33, 1, v22
	v_fma_f32 v34, -v23, v22, v15
	s_delay_alu instid0(VALU_DEP_2) | instskip(NEXT) | instid1(VALU_DEP_2)
	v_fma_f32 v35, -v33, v22, v15
	v_cmp_ge_f32_e64 s4, 0, v34
	s_delay_alu instid0(VALU_DEP_1) | instskip(NEXT) | instid1(VALU_DEP_3)
	v_cndmask_b32_e64 v22, v22, v23, s4
	v_cmp_lt_f32_e64 s4, 0, v35
                                        ; implicit-def: $vgpr35
	s_delay_alu instid0(VALU_DEP_1) | instskip(SKIP_1) | instid1(VALU_DEP_1)
	v_cndmask_b32_e64 v22, v22, v33, s4
	s_mov_b32 s4, exec_lo
	v_mul_f32_e32 v23, 0x37800000, v22
	s_delay_alu instid0(VALU_DEP_1) | instskip(SKIP_1) | instid1(VALU_DEP_2)
	v_cndmask_b32_e32 v22, v22, v23, vcc_lo
	v_cmp_class_f32_e64 vcc_lo, v15, 0x260
	v_cndmask_b32_e32 v15, v22, v15, vcc_lo
	v_cmpx_nlt_f32_e32 0, v14
	s_xor_b32 s4, exec_lo, s4
	s_cbranch_execz .LBB8_68
; %bb.67:                               ;   in Loop: Header=BB8_40 Depth=2
	s_delay_alu instid0(VALU_DEP_2) | instskip(SKIP_1) | instid1(VALU_DEP_1)
	v_sub_f32_e32 v11, v14, v15
	v_add_f32_e32 v13, v13, v13
	v_div_scale_f32 v14, null, v13, v13, v11
	s_delay_alu instid0(VALU_DEP_1) | instskip(SKIP_2) | instid1(VALU_DEP_1)
	v_rcp_f32_e32 v15, v14
	s_waitcnt_depctr 0xfff
	v_fma_f32 v22, -v14, v15, 1.0
	v_fmac_f32_e32 v15, v22, v15
	v_div_scale_f32 v22, vcc_lo, v11, v13, v11
	s_delay_alu instid0(VALU_DEP_1) | instskip(NEXT) | instid1(VALU_DEP_1)
	v_mul_f32_e32 v23, v22, v15
	v_fma_f32 v33, -v14, v23, v22
	s_delay_alu instid0(VALU_DEP_1) | instskip(NEXT) | instid1(VALU_DEP_1)
	v_fmac_f32_e32 v23, v33, v15
	v_fma_f32 v14, -v14, v23, v22
	s_delay_alu instid0(VALU_DEP_1) | instskip(NEXT) | instid1(VALU_DEP_1)
	v_div_fmas_f32 v14, v14, v15, v23
                                        ; implicit-def: $vgpr15
	v_div_fixup_f32 v35, v14, v13, v11
                                        ; implicit-def: $vgpr11
                                        ; implicit-def: $vgpr14
.LBB8_68:                               ;   in Loop: Header=BB8_40 Depth=2
	s_and_not1_saveexec_b32 s4, s4
	s_cbranch_execz .LBB8_70
; %bb.69:                               ;   in Loop: Header=BB8_40 Depth=2
	v_add_f32_e32 v11, v11, v11
	v_add_f32_e32 v13, v14, v15
	s_delay_alu instid0(VALU_DEP_1) | instskip(NEXT) | instid1(VALU_DEP_1)
	v_div_scale_f32 v14, null, v13, v13, v11
	v_rcp_f32_e32 v15, v14
	s_waitcnt_depctr 0xfff
	v_fma_f32 v22, -v14, v15, 1.0
	s_delay_alu instid0(VALU_DEP_1) | instskip(SKIP_1) | instid1(VALU_DEP_1)
	v_fmac_f32_e32 v15, v22, v15
	v_div_scale_f32 v22, vcc_lo, v11, v13, v11
	v_mul_f32_e32 v23, v22, v15
	s_delay_alu instid0(VALU_DEP_1) | instskip(NEXT) | instid1(VALU_DEP_1)
	v_fma_f32 v33, -v14, v23, v22
	v_fmac_f32_e32 v23, v33, v15
	s_delay_alu instid0(VALU_DEP_1) | instskip(NEXT) | instid1(VALU_DEP_1)
	v_fma_f32 v14, -v14, v23, v22
	v_div_fmas_f32 v14, v14, v15, v23
	s_delay_alu instid0(VALU_DEP_1)
	v_div_fixup_f32 v35, v14, v13, v11
.LBB8_70:                               ;   in Loop: Header=BB8_40 Depth=2
	s_or_b32 exec_lo, exec_lo, s4
	s_delay_alu instid0(VALU_DEP_1)
	v_dual_mul_f32 v37, 0.5, v32 :: v_dual_add_f32 v34, v20, v35
	v_dual_mov_b32 v36, 0 :: v_dual_mov_b32 v11, v12
	v_mov_b32_e32 v33, v20
.LBB8_71:                               ;   in Loop: Header=BB8_40 Depth=2
	s_or_b32 exec_lo, exec_lo, s5
	v_dual_mov_b32 v13, v6 :: v_dual_mov_b32 v12, v5
	s_mov_b32 s6, -1
	s_mov_b32 s5, 0
.LBB8_72:                               ;   Parent Loop BB8_4 Depth=1
                                        ;     Parent Loop BB8_40 Depth=2
                                        ; =>    This Inner Loop Header: Depth=3
	global_load_b32 v14, v[12:13], off
	s_add_i32 s6, s6, 1
	s_delay_alu instid0(SALU_CYCLE_1)
	v_cmp_eq_u32_e32 vcc_lo, s6, v11
	s_or_b32 s5, vcc_lo, s5
	s_waitcnt vmcnt(0)
	v_sub_f32_e32 v14, v14, v33
	global_store_b32 v[12:13], v14, off
	v_add_co_u32 v12, s4, v12, 4
	s_delay_alu instid0(VALU_DEP_1)
	v_add_co_ci_u32_e64 v13, s4, 0, v13, s4
	s_and_not1_b32 exec_lo, exec_lo, s5
	s_cbranch_execnz .LBB8_72
; %bb.73:                               ;   in Loop: Header=BB8_40 Depth=2
	s_or_b32 exec_lo, exec_lo, s5
	v_cmp_le_i32_e64 s6, s36, v11
	v_cmp_gt_i32_e64 s4, s36, v11
	s_delay_alu instid0(VALU_DEP_1)
	s_and_saveexec_b32 s7, s4
	s_cbranch_execz .LBB8_76
; %bb.74:                               ;   in Loop: Header=BB8_40 Depth=2
	v_lshlrev_b64 v[12:13], 2, v[18:19]
	s_mov_b32 s8, 0
	s_mov_b32 s9, s36
	s_delay_alu instid0(VALU_DEP_1) | instskip(NEXT) | instid1(VALU_DEP_2)
	v_add_co_u32 v12, vcc_lo, s37, v12
	v_add_co_ci_u32_e32 v13, vcc_lo, s86, v13, vcc_lo
.LBB8_75:                               ;   Parent Loop BB8_4 Depth=1
                                        ;     Parent Loop BB8_40 Depth=2
                                        ; =>    This Inner Loop Header: Depth=3
	global_load_b32 v14, v[12:13], off
	s_add_i32 s9, s9, -1
	s_delay_alu instid0(SALU_CYCLE_1)
	v_cmp_le_i32_e32 vcc_lo, s9, v11
	s_or_b32 s8, vcc_lo, s8
	s_waitcnt vmcnt(0)
	v_sub_f32_e32 v14, v14, v33
	global_store_b32 v[12:13], v14, off
	v_add_co_u32 v12, s5, v12, -4
	s_delay_alu instid0(VALU_DEP_1)
	v_add_co_ci_u32_e64 v13, s5, -1, v13, s5
	s_and_not1_b32 exec_lo, exec_lo, s8
	s_cbranch_execnz .LBB8_75
.LBB8_76:                               ;   in Loop: Header=BB8_40 Depth=2
	s_or_b32 exec_lo, exec_lo, s7
	v_dual_mov_b32 v12, v2 :: v_dual_mov_b32 v39, 0
	v_cmp_lt_i32_e64 s5, 0, v11
	v_mov_b32_e32 v38, 0
	v_mov_b32_e32 v40, 0
	s_delay_alu instid0(VALU_DEP_4) | instskip(NEXT) | instid1(VALU_DEP_1)
	v_lshlrev_b64 v[14:15], 2, v[11:12]
	v_add_co_u32 v12, vcc_lo, v5, v14
	s_delay_alu instid0(VALU_DEP_2)
	v_add_co_ci_u32_e32 v13, vcc_lo, v6, v15, vcc_lo
	global_load_b32 v22, v[12:13], off
	s_waitcnt vmcnt(0)
	v_sub_f32_e32 v22, v22, v35
	global_store_b32 v[12:13], v22, off
	s_and_saveexec_b32 s90, s5
	s_cbranch_execz .LBB8_80
; %bb.77:                               ;   in Loop: Header=BB8_40 Depth=2
	v_dual_mov_b32 v23, v6 :: v_dual_mov_b32 v38, 0
	v_dual_mov_b32 v39, 0 :: v_dual_mov_b32 v22, v5
	;; [unrolled: 1-line block ×3, first 2 shown]
	s_mov_b32 s91, 0
	s_mov_b64 s[8:9], s[34:35]
	s_set_inst_prefetch_distance 0x1
	.p2align	6
.LBB8_78:                               ;   Parent Loop BB8_4 Depth=1
                                        ;     Parent Loop BB8_40 Depth=2
                                        ; =>    This Inner Loop Header: Depth=3
	global_load_b32 v42, v[22:23], off
	s_waitcnt vmcnt(0)
	v_dual_sub_f32 v42, v42, v35 :: v_dual_add_nc_u32 v41, -1, v41
	global_store_b32 v[22:23], v42, off
	global_load_b32 v43, v2, s[8:9]
	v_add_co_u32 v22, s7, v22, 4
	s_delay_alu instid0(VALU_DEP_1) | instskip(SKIP_4) | instid1(VALU_DEP_1)
	v_add_co_ci_u32_e64 v23, s7, 0, v23, s7
	s_add_u32 s8, s8, 4
	s_addc_u32 s9, s9, 0
	s_waitcnt vmcnt(0)
	v_div_scale_f32 v44, null, v42, v42, v43
	v_rcp_f32_e32 v45, v44
	s_waitcnt_depctr 0xfff
	v_fma_f32 v47, -v44, v45, 1.0
	s_delay_alu instid0(VALU_DEP_1) | instskip(SKIP_1) | instid1(VALU_DEP_1)
	v_fmac_f32_e32 v45, v47, v45
	v_div_scale_f32 v46, vcc_lo, v43, v42, v43
	v_mul_f32_e32 v47, v46, v45
	s_delay_alu instid0(VALU_DEP_1) | instskip(NEXT) | instid1(VALU_DEP_1)
	v_fma_f32 v48, -v44, v47, v46
	v_fmac_f32_e32 v47, v48, v45
	s_delay_alu instid0(VALU_DEP_1) | instskip(NEXT) | instid1(VALU_DEP_1)
	v_fma_f32 v44, -v44, v47, v46
	v_div_fmas_f32 v44, v44, v45, v47
	v_cmp_eq_u32_e32 vcc_lo, 0, v41
	s_delay_alu instid0(VALU_DEP_2) | instskip(SKIP_1) | instid1(VALU_DEP_1)
	v_div_fixup_f32 v42, v44, v42, v43
	s_or_b32 s91, vcc_lo, s91
	v_fmac_f32_e32 v40, v43, v42
	v_fmac_f32_e32 v39, v42, v42
	s_delay_alu instid0(VALU_DEP_2)
	v_add_f32_e32 v38, v38, v40
	s_and_not1_b32 exec_lo, exec_lo, s91
	s_cbranch_execnz .LBB8_78
; %bb.79:                               ;   in Loop: Header=BB8_40 Depth=2
	s_set_inst_prefetch_distance 0x2
	s_or_b32 exec_lo, exec_lo, s91
.LBB8_80:                               ;   in Loop: Header=BB8_40 Depth=2
	s_delay_alu instid0(SALU_CYCLE_1)
	s_or_b32 exec_lo, exec_lo, s90
	v_dual_mov_b32 v44, 0 :: v_dual_and_b32 v43, 0x7fffffff, v38
	v_mov_b32_e32 v41, 0
	s_and_saveexec_b32 s90, s4
	s_cbranch_execz .LBB8_84
; %bb.81:                               ;   in Loop: Header=BB8_40 Depth=2
	v_lshlrev_b64 v[22:23], 2, v[18:19]
	v_dual_mov_b32 v41, 0 :: v_dual_mov_b32 v44, 0
	s_mov_b32 s91, 0
	s_mov_b64 s[8:9], s[42:43]
	s_mov_b32 s92, s36
	s_delay_alu instid0(VALU_DEP_2)
	v_add_co_u32 v22, vcc_lo, s37, v22
	v_add_co_ci_u32_e32 v23, vcc_lo, s86, v23, vcc_lo
	s_set_inst_prefetch_distance 0x1
	.p2align	6
.LBB8_82:                               ;   Parent Loop BB8_4 Depth=1
                                        ;     Parent Loop BB8_40 Depth=2
                                        ; =>    This Inner Loop Header: Depth=3
	global_load_b32 v38, v[22:23], off
	s_add_i32 s92, s92, -1
	s_waitcnt vmcnt(0)
	v_sub_f32_e32 v38, v38, v35
	global_store_b32 v[22:23], v38, off
	global_load_b32 v42, v2, s[8:9]
	v_add_co_u32 v22, s7, v22, -4
	s_delay_alu instid0(VALU_DEP_1)
	v_add_co_ci_u32_e64 v23, s7, -1, v23, s7
	s_add_u32 s8, s8, -4
	s_addc_u32 s9, s9, -1
	s_waitcnt vmcnt(0)
	v_div_scale_f32 v45, null, v38, v38, v42
	v_div_scale_f32 v48, vcc_lo, v42, v38, v42
	s_delay_alu instid0(VALU_DEP_2) | instskip(SKIP_2) | instid1(VALU_DEP_1)
	v_rcp_f32_e32 v46, v45
	s_waitcnt_depctr 0xfff
	v_fma_f32 v47, -v45, v46, 1.0
	v_fmac_f32_e32 v46, v47, v46
	s_delay_alu instid0(VALU_DEP_1) | instskip(NEXT) | instid1(VALU_DEP_1)
	v_mul_f32_e32 v47, v48, v46
	v_fma_f32 v49, -v45, v47, v48
	s_delay_alu instid0(VALU_DEP_1) | instskip(NEXT) | instid1(VALU_DEP_1)
	v_fmac_f32_e32 v47, v49, v46
	v_fma_f32 v45, -v45, v47, v48
	s_delay_alu instid0(VALU_DEP_1) | instskip(SKIP_1) | instid1(VALU_DEP_2)
	v_div_fmas_f32 v45, v45, v46, v47
	v_cmp_le_i32_e32 vcc_lo, s92, v11
	v_div_fixup_f32 v38, v45, v38, v42
	s_or_b32 s91, vcc_lo, s91
	s_delay_alu instid0(VALU_DEP_1) | instskip(SKIP_1) | instid1(VALU_DEP_2)
	v_fmac_f32_e32 v44, v42, v38
	v_fmac_f32_e32 v41, v38, v38
	v_add_f32_e32 v43, v43, v44
	s_and_not1_b32 exec_lo, exec_lo, s91
	s_cbranch_execnz .LBB8_82
; %bb.83:                               ;   in Loop: Header=BB8_40 Depth=2
	s_set_inst_prefetch_distance 0x2
	s_or_b32 exec_lo, exec_lo, s91
.LBB8_84:                               ;   in Loop: Header=BB8_40 Depth=2
	s_delay_alu instid0(SALU_CYCLE_1)
	s_or_b32 exec_lo, exec_lo, s90
	v_add_co_u32 v14, vcc_lo, s34, v14
	v_add_co_ci_u32_e32 v15, vcc_lo, s35, v15, vcc_lo
	s_mov_b32 s90, exec_lo
	global_load_b32 v38, v[12:13], off
	global_load_b32 v22, v[14:15], off
	s_waitcnt vmcnt(0)
	v_div_scale_f32 v23, null, v38, v38, v22
	v_div_scale_f32 v46, vcc_lo, v22, v38, v22
	s_delay_alu instid0(VALU_DEP_2) | instskip(SKIP_2) | instid1(VALU_DEP_1)
	v_rcp_f32_e32 v42, v23
	s_waitcnt_depctr 0xfff
	v_fma_f32 v45, -v23, v42, 1.0
	v_fmac_f32_e32 v42, v45, v42
	s_delay_alu instid0(VALU_DEP_1) | instskip(NEXT) | instid1(VALU_DEP_1)
	v_mul_f32_e32 v45, v46, v42
	v_fma_f32 v47, -v23, v45, v46
	s_delay_alu instid0(VALU_DEP_1) | instskip(NEXT) | instid1(VALU_DEP_1)
	v_fmac_f32_e32 v45, v47, v42
	v_fma_f32 v23, -v23, v45, v46
	s_delay_alu instid0(VALU_DEP_1) | instskip(SKIP_3) | instid1(VALU_DEP_4)
	v_div_fmas_f32 v23, v23, v42, v45
	v_sub_f32_e32 v45, v44, v40
	v_add_f32_e32 v40, v30, v40
	v_add_f32_e32 v42, v39, v41
	v_div_fixup_f32 v23, v23, v38, v22
	s_delay_alu instid0(VALU_DEP_4) | instskip(NEXT) | instid1(VALU_DEP_2)
	v_fmamk_f32 v45, v45, 0x41000000, v31
	v_mul_f32_e32 v39, v22, v23
	s_delay_alu instid0(VALU_DEP_4) | instskip(NEXT) | instid1(VALU_DEP_2)
	v_fma_f32 v41, v23, v23, v42
	v_fma_f32 v39, 0x40400000, |v39|, v45
	s_delay_alu instid0(VALU_DEP_1) | instskip(NEXT) | instid1(VALU_DEP_1)
	v_fma_f32 v45, |v35|, v41, v39
	v_dual_add_f32 v39, v40, v44 :: v_dual_add_f32 v40, v43, v45
	s_delay_alu instid0(VALU_DEP_1) | instskip(NEXT) | instid1(VALU_DEP_1)
	v_dual_fmac_f32 v39, v22, v23 :: v_dual_mul_f32 v22, s45, v40
	v_cmpx_nle_f32_e64 |v39|, v22
	s_cbranch_execz .LBB8_164
; %bb.85:                               ;   in Loop: Header=BB8_40 Depth=2
	v_cndmask_b32_e64 v22, 4, 0, s2
	v_sub_f32_e32 v34, v20, v21
	s_mov_b32 s7, exec_lo
	s_delay_alu instid0(VALU_DEP_2) | instskip(SKIP_1) | instid1(VALU_DEP_3)
	v_add_co_u32 v22, vcc_lo, v9, v22
	v_add_co_ci_u32_e32 v23, vcc_lo, 0, v10, vcc_lo
	v_cndmask_b32_e64 v20, v32, v34, s2
	global_load_b32 v40, v[22:23], off
	global_load_b64 v[22:23], v[7:8], off
	s_waitcnt vmcnt(1)
	v_mul_f32_e32 v20, v20, v40
	s_waitcnt vmcnt(0)
	v_cndmask_b32_e64 v21, v23, v22, s2
	s_delay_alu instid0(VALU_DEP_2) | instskip(NEXT) | instid1(VALU_DEP_1)
	v_mul_f32_e32 v20, v40, v20
	v_div_scale_f32 v40, null, v21, v21, v20
	v_div_scale_f32 v45, vcc_lo, v20, v21, v20
	s_delay_alu instid0(VALU_DEP_2) | instskip(SKIP_2) | instid1(VALU_DEP_1)
	v_rcp_f32_e32 v43, v40
	s_waitcnt_depctr 0xfff
	v_fma_f32 v44, -v40, v43, 1.0
	v_fmac_f32_e32 v43, v44, v43
	s_delay_alu instid0(VALU_DEP_1) | instskip(NEXT) | instid1(VALU_DEP_1)
	v_mul_f32_e32 v44, v45, v43
	v_fma_f32 v46, -v40, v44, v45
	s_delay_alu instid0(VALU_DEP_1) | instskip(NEXT) | instid1(VALU_DEP_1)
	v_fmac_f32_e32 v44, v46, v43
	v_fma_f32 v40, -v40, v44, v45
	s_delay_alu instid0(VALU_DEP_1) | instskip(NEXT) | instid1(VALU_DEP_1)
	v_div_fmas_f32 v40, v40, v43, v44
	v_div_fixup_f32 v20, v40, v21, v20
	s_delay_alu instid0(VALU_DEP_1) | instskip(NEXT) | instid1(VALU_DEP_1)
	v_div_scale_f32 v40, null, v21, v21, v20
	v_rcp_f32_e32 v43, v40
	s_waitcnt_depctr 0xfff
	v_fma_f32 v44, -v40, v43, 1.0
	s_delay_alu instid0(VALU_DEP_1) | instskip(SKIP_1) | instid1(VALU_DEP_1)
	v_fmac_f32_e32 v43, v44, v43
	v_div_scale_f32 v44, vcc_lo, v20, v21, v20
	v_mul_f32_e32 v45, v44, v43
	s_delay_alu instid0(VALU_DEP_1) | instskip(NEXT) | instid1(VALU_DEP_1)
	v_fma_f32 v46, -v40, v45, v44
	v_fmac_f32_e32 v45, v46, v43
	s_delay_alu instid0(VALU_DEP_1) | instskip(SKIP_1) | instid1(VALU_DEP_2)
	v_fma_f32 v40, -v40, v45, v44
	v_cndmask_b32_e64 v44, v22, v23, s2
	v_div_fmas_f32 v40, v40, v43, v45
	v_mul_f32_e32 v45, v22, v23
	s_delay_alu instid0(VALU_DEP_3) | instskip(NEXT) | instid1(VALU_DEP_3)
	v_fma_f32 v43, -v41, v44, v39
	v_div_fixup_f32 v20, v40, v21, v20
	s_delay_alu instid0(VALU_DEP_3) | instskip(NEXT) | instid1(VALU_DEP_2)
	v_dual_add_f32 v21, v22, v23 :: v_dual_mul_f32 v40, v41, v45
	v_sub_f32_e32 v43, v43, v20
	v_mul_f32_e32 v20, v39, v45
	s_delay_alu instid0(VALU_DEP_3) | instskip(NEXT) | instid1(VALU_DEP_3)
	v_fma_f32 v21, v39, v21, -v40
                                        ; implicit-def: $vgpr40
	v_cmpx_neq_f32_e32 0, v43
	s_xor_b32 s8, exec_lo, s7
	s_cbranch_execz .LBB8_91
; %bb.86:                               ;   in Loop: Header=BB8_40 Depth=2
	v_mul_f32_e32 v22, -4.0, v20
	s_delay_alu instid0(VALU_DEP_1) | instskip(NEXT) | instid1(VALU_DEP_1)
	v_mul_f32_e32 v22, v22, v43
	v_fmac_f32_e32 v22, v21, v21
	s_delay_alu instid0(VALU_DEP_1) | instskip(SKIP_1) | instid1(VALU_DEP_1)
	v_mul_f32_e64 v23, 0x4f800000, |v22|
	v_cmp_gt_f32_e64 vcc_lo, 0xf800000, |v22|
	v_cndmask_b32_e64 v22, |v22|, v23, vcc_lo
	s_delay_alu instid0(VALU_DEP_1) | instskip(SKIP_3) | instid1(VALU_DEP_2)
	v_sqrt_f32_e32 v23, v22
	s_waitcnt_depctr 0xfff
	v_add_nc_u32_e32 v40, -1, v23
	v_add_nc_u32_e32 v42, 1, v23
	v_fma_f32 v44, -v40, v23, v22
	s_delay_alu instid0(VALU_DEP_2) | instskip(NEXT) | instid1(VALU_DEP_2)
	v_fma_f32 v45, -v42, v23, v22
	v_cmp_ge_f32_e64 s7, 0, v44
	s_delay_alu instid0(VALU_DEP_1) | instskip(NEXT) | instid1(VALU_DEP_3)
	v_cndmask_b32_e64 v23, v23, v40, s7
	v_cmp_lt_f32_e64 s7, 0, v45
	s_delay_alu instid0(VALU_DEP_1) | instskip(SKIP_1) | instid1(VALU_DEP_1)
	v_cndmask_b32_e64 v23, v23, v42, s7
	s_mov_b32 s7, exec_lo
	v_mul_f32_e32 v40, 0x37800000, v23
	s_delay_alu instid0(VALU_DEP_1) | instskip(SKIP_1) | instid1(VALU_DEP_2)
	v_cndmask_b32_e32 v23, v23, v40, vcc_lo
	v_cmp_class_f32_e64 vcc_lo, v22, 0x260
                                        ; implicit-def: $vgpr40
	v_cndmask_b32_e32 v22, v23, v22, vcc_lo
	v_cmpx_ge_f32_e32 0, v21
	s_xor_b32 s7, exec_lo, s7
	s_cbranch_execz .LBB8_88
; %bb.87:                               ;   in Loop: Header=BB8_40 Depth=2
	s_delay_alu instid0(VALU_DEP_2) | instskip(NEXT) | instid1(VALU_DEP_1)
	v_dual_sub_f32 v20, v21, v22 :: v_dual_add_f32 v21, v43, v43
	v_div_scale_f32 v22, null, v21, v21, v20
	s_delay_alu instid0(VALU_DEP_1) | instskip(SKIP_2) | instid1(VALU_DEP_1)
	v_rcp_f32_e32 v23, v22
	s_waitcnt_depctr 0xfff
	v_fma_f32 v40, -v22, v23, 1.0
	v_fmac_f32_e32 v23, v40, v23
	v_div_scale_f32 v40, vcc_lo, v20, v21, v20
	s_delay_alu instid0(VALU_DEP_1) | instskip(NEXT) | instid1(VALU_DEP_1)
	v_mul_f32_e32 v42, v40, v23
	v_fma_f32 v43, -v22, v42, v40
	s_delay_alu instid0(VALU_DEP_1) | instskip(NEXT) | instid1(VALU_DEP_1)
	v_fmac_f32_e32 v42, v43, v23
	v_fma_f32 v22, -v22, v42, v40
	s_delay_alu instid0(VALU_DEP_1) | instskip(NEXT) | instid1(VALU_DEP_1)
	v_div_fmas_f32 v22, v22, v23, v42
	v_div_fixup_f32 v40, v22, v21, v20
                                        ; implicit-def: $vgpr20
                                        ; implicit-def: $vgpr21
                                        ; implicit-def: $vgpr22
.LBB8_88:                               ;   in Loop: Header=BB8_40 Depth=2
	s_and_not1_saveexec_b32 s7, s7
	s_cbranch_execz .LBB8_90
; %bb.89:                               ;   in Loop: Header=BB8_40 Depth=2
	v_dual_add_f32 v20, v20, v20 :: v_dual_add_f32 v21, v21, v22
	s_delay_alu instid0(VALU_DEP_1) | instskip(NEXT) | instid1(VALU_DEP_1)
	v_div_scale_f32 v22, null, v21, v21, v20
	v_rcp_f32_e32 v23, v22
	s_waitcnt_depctr 0xfff
	v_fma_f32 v40, -v22, v23, 1.0
	s_delay_alu instid0(VALU_DEP_1) | instskip(SKIP_1) | instid1(VALU_DEP_1)
	v_fmac_f32_e32 v23, v40, v23
	v_div_scale_f32 v40, vcc_lo, v20, v21, v20
	v_mul_f32_e32 v42, v40, v23
	s_delay_alu instid0(VALU_DEP_1) | instskip(NEXT) | instid1(VALU_DEP_1)
	v_fma_f32 v43, -v22, v42, v40
	v_fmac_f32_e32 v42, v43, v23
	s_delay_alu instid0(VALU_DEP_1) | instskip(NEXT) | instid1(VALU_DEP_1)
	v_fma_f32 v22, -v22, v42, v40
	v_div_fmas_f32 v22, v22, v23, v42
	s_delay_alu instid0(VALU_DEP_1)
	v_div_fixup_f32 v40, v22, v21, v20
.LBB8_90:                               ;   in Loop: Header=BB8_40 Depth=2
	s_or_b32 exec_lo, exec_lo, s7
                                        ; implicit-def: $vgpr21
                                        ; implicit-def: $vgpr20
                                        ; implicit-def: $vgpr22_vgpr23
                                        ; implicit-def: $vgpr42
.LBB8_91:                               ;   in Loop: Header=BB8_40 Depth=2
	s_and_not1_saveexec_b32 s7, s8
	s_cbranch_execz .LBB8_99
; %bb.92:                               ;   in Loop: Header=BB8_40 Depth=2
	s_mov_b32 s8, exec_lo
	v_cmpx_eq_f32_e32 0, v21
	s_cbranch_execz .LBB8_98
; %bb.93:                               ;   in Loop: Header=BB8_40 Depth=2
                                        ; implicit-def: $vgpr21
	s_and_saveexec_b32 s9, s3
	s_delay_alu instid0(SALU_CYCLE_1)
	s_xor_b32 s9, exec_lo, s9
	s_cbranch_execz .LBB8_95
; %bb.94:                               ;   in Loop: Header=BB8_40 Depth=2
	global_load_b32 v21, v[9:10], off offset:4
	s_waitcnt vmcnt(0)
	v_dual_mul_f32 v22, v22, v22 :: v_dual_mul_f32 v21, v21, v21
	s_delay_alu instid0(VALU_DEP_1)
	v_fmac_f32_e32 v21, v42, v22
                                        ; implicit-def: $vgpr22_vgpr23
                                        ; implicit-def: $vgpr42
.LBB8_95:                               ;   in Loop: Header=BB8_40 Depth=2
	s_and_not1_saveexec_b32 s9, s9
	s_cbranch_execz .LBB8_97
; %bb.96:                               ;   in Loop: Header=BB8_40 Depth=2
	global_load_b32 v21, v[9:10], off
	s_waitcnt vmcnt(0)
	v_dual_mul_f32 v22, v23, v23 :: v_dual_mul_f32 v21, v21, v21
	s_delay_alu instid0(VALU_DEP_1)
	v_fmac_f32_e32 v21, v42, v22
.LBB8_97:                               ;   in Loop: Header=BB8_40 Depth=2
	s_or_b32 exec_lo, exec_lo, s9
.LBB8_98:                               ;   in Loop: Header=BB8_40 Depth=2
	s_delay_alu instid0(SALU_CYCLE_1) | instskip(NEXT) | instid1(VALU_DEP_1)
	s_or_b32 exec_lo, exec_lo, s8
	v_div_scale_f32 v22, null, v21, v21, v20
	s_delay_alu instid0(VALU_DEP_1) | instskip(SKIP_2) | instid1(VALU_DEP_1)
	v_rcp_f32_e32 v23, v22
	s_waitcnt_depctr 0xfff
	v_fma_f32 v40, -v22, v23, 1.0
	v_fmac_f32_e32 v23, v40, v23
	v_div_scale_f32 v40, vcc_lo, v20, v21, v20
	s_delay_alu instid0(VALU_DEP_1) | instskip(NEXT) | instid1(VALU_DEP_1)
	v_mul_f32_e32 v42, v40, v23
	v_fma_f32 v43, -v22, v42, v40
	s_delay_alu instid0(VALU_DEP_1) | instskip(NEXT) | instid1(VALU_DEP_1)
	v_fmac_f32_e32 v42, v43, v23
	v_fma_f32 v22, -v22, v42, v40
	s_delay_alu instid0(VALU_DEP_1) | instskip(NEXT) | instid1(VALU_DEP_1)
	v_div_fmas_f32 v22, v22, v23, v42
	v_div_fixup_f32 v40, v22, v21, v20
.LBB8_99:                               ;   in Loop: Header=BB8_40 Depth=2
	s_or_b32 exec_lo, exec_lo, s7
	s_delay_alu instid0(VALU_DEP_1) | instskip(SKIP_1) | instid1(VALU_DEP_1)
	v_mul_f32_e32 v20, v39, v40
	s_mov_b32 s7, exec_lo
	v_cmpx_le_f32_e32 0, v20
; %bb.100:                              ;   in Loop: Header=BB8_40 Depth=2
	v_div_scale_f32 v20, null, v41, v41, -v39
	s_delay_alu instid0(VALU_DEP_1) | instskip(SKIP_2) | instid1(VALU_DEP_1)
	v_rcp_f32_e32 v21, v20
	s_waitcnt_depctr 0xfff
	v_fma_f32 v22, -v20, v21, 1.0
	v_fmac_f32_e32 v21, v22, v21
	v_div_scale_f32 v22, vcc_lo, -v39, v41, -v39
	s_delay_alu instid0(VALU_DEP_1) | instskip(NEXT) | instid1(VALU_DEP_1)
	v_mul_f32_e32 v23, v22, v21
	v_fma_f32 v40, -v20, v23, v22
	s_delay_alu instid0(VALU_DEP_1) | instskip(NEXT) | instid1(VALU_DEP_1)
	v_fmac_f32_e32 v23, v40, v21
	v_fma_f32 v20, -v20, v23, v22
	s_delay_alu instid0(VALU_DEP_1) | instskip(NEXT) | instid1(VALU_DEP_1)
	v_div_fmas_f32 v20, v20, v21, v23
	v_div_fixup_f32 v40, v20, v41, -v39
; %bb.101:                              ;   in Loop: Header=BB8_40 Depth=2
	s_or_b32 exec_lo, exec_lo, s7
	v_cmp_lt_f32_e32 vcc_lo, 0, v39
	v_cmp_lt_f32_e64 s7, v35, v37
	v_cmp_lt_f32_e64 s8, v36, v35
	v_add_f32_e32 v21, v35, v40
	s_delay_alu instid0(VALU_DEP_3) | instskip(NEXT) | instid1(VALU_DEP_2)
	s_and_b32 vcc_lo, vcc_lo, s7
	v_cndmask_b32_e64 v20, v36, v35, s8
	v_cndmask_b32_e32 v22, v37, v35, vcc_lo
	v_cmp_nge_f32_e32 vcc_lo, 0, v39
	s_delay_alu instid0(VALU_DEP_3) | instskip(NEXT) | instid1(VALU_DEP_3)
	v_cndmask_b32_e32 v23, v20, v36, vcc_lo
	v_cmp_gt_f32_e32 vcc_lo, v21, v22
	s_delay_alu instid0(VALU_DEP_2) | instskip(NEXT) | instid1(VALU_DEP_1)
	v_cmp_lt_f32_e64 s7, v21, v23
	s_or_b32 s8, vcc_lo, s7
	s_delay_alu instid0(SALU_CYCLE_1)
	s_and_saveexec_b32 s7, s8
	s_cbranch_execz .LBB8_107
; %bb.102:                              ;   in Loop: Header=BB8_40 Depth=2
	s_mov_b32 s8, exec_lo
                                        ; implicit-def: $vgpr40
	v_cmpx_ngt_f32_e32 0, v39
	s_xor_b32 s8, exec_lo, s8
; %bb.103:                              ;   in Loop: Header=BB8_40 Depth=2
	v_sub_f32_e32 v20, v23, v35
	s_delay_alu instid0(VALU_DEP_1)
	v_mul_f32_e32 v40, 0.5, v20
; %bb.104:                              ;   in Loop: Header=BB8_40 Depth=2
	s_and_not1_saveexec_b32 s8, s8
; %bb.105:                              ;   in Loop: Header=BB8_40 Depth=2
	v_sub_f32_e32 v20, v22, v35
	s_delay_alu instid0(VALU_DEP_1)
	v_mul_f32_e32 v40, 0.5, v20
; %bb.106:                              ;   in Loop: Header=BB8_40 Depth=2
	s_or_b32 exec_lo, exec_lo, s8
.LBB8_107:                              ;   in Loop: Header=BB8_40 Depth=2
	s_delay_alu instid0(SALU_CYCLE_1) | instskip(NEXT) | instid1(VALU_DEP_1)
	s_or_b32 exec_lo, exec_lo, s7
	v_dual_sub_f32 v20, v38, v40 :: v_dual_mov_b32 v37, 0
	v_dual_mov_b32 v36, 0 :: v_dual_mov_b32 v41, 0
	global_store_b32 v[12:13], v20, off
	s_and_saveexec_b32 s91, s5
	s_cbranch_execz .LBB8_111
; %bb.108:                              ;   in Loop: Header=BB8_40 Depth=2
	v_dual_mov_b32 v36, 0 :: v_dual_mov_b32 v21, v6
	v_dual_mov_b32 v20, v5 :: v_dual_mov_b32 v37, 0
	;; [unrolled: 1-line block ×3, first 2 shown]
	s_mov_b32 s92, 0
	s_mov_b64 s[8:9], s[34:35]
	s_set_inst_prefetch_distance 0x1
	.p2align	6
.LBB8_109:                              ;   Parent Loop BB8_4 Depth=1
                                        ;     Parent Loop BB8_40 Depth=2
                                        ; =>    This Inner Loop Header: Depth=3
	global_load_b32 v42, v[20:21], off
	v_add_nc_u32_e32 v38, -1, v38
	s_waitcnt vmcnt(0)
	v_sub_f32_e32 v42, v42, v40
	global_store_b32 v[20:21], v42, off
	global_load_b32 v43, v2, s[8:9]
	v_add_co_u32 v20, s7, v20, 4
	s_delay_alu instid0(VALU_DEP_1) | instskip(SKIP_4) | instid1(VALU_DEP_1)
	v_add_co_ci_u32_e64 v21, s7, 0, v21, s7
	s_add_u32 s8, s8, 4
	s_addc_u32 s9, s9, 0
	s_waitcnt vmcnt(0)
	v_div_scale_f32 v44, null, v42, v42, v43
	v_rcp_f32_e32 v45, v44
	s_waitcnt_depctr 0xfff
	v_fma_f32 v47, -v44, v45, 1.0
	s_delay_alu instid0(VALU_DEP_1) | instskip(SKIP_1) | instid1(VALU_DEP_1)
	v_fmac_f32_e32 v45, v47, v45
	v_div_scale_f32 v46, vcc_lo, v43, v42, v43
	v_mul_f32_e32 v47, v46, v45
	s_delay_alu instid0(VALU_DEP_1) | instskip(NEXT) | instid1(VALU_DEP_1)
	v_fma_f32 v48, -v44, v47, v46
	v_fmac_f32_e32 v47, v48, v45
	s_delay_alu instid0(VALU_DEP_1) | instskip(NEXT) | instid1(VALU_DEP_1)
	v_fma_f32 v44, -v44, v47, v46
	v_div_fmas_f32 v44, v44, v45, v47
	v_cmp_eq_u32_e32 vcc_lo, 0, v38
	s_delay_alu instid0(VALU_DEP_2) | instskip(SKIP_1) | instid1(VALU_DEP_1)
	v_div_fixup_f32 v42, v44, v42, v43
	s_or_b32 s92, vcc_lo, s92
	v_fmac_f32_e32 v36, v42, v42
	v_fmac_f32_e32 v41, v43, v42
	s_delay_alu instid0(VALU_DEP_1)
	v_add_f32_e32 v37, v37, v41
	s_and_not1_b32 exec_lo, exec_lo, s92
	s_cbranch_execnz .LBB8_109
; %bb.110:                              ;   in Loop: Header=BB8_40 Depth=2
	s_set_inst_prefetch_distance 0x2
	s_or_b32 exec_lo, exec_lo, s92
.LBB8_111:                              ;   in Loop: Header=BB8_40 Depth=2
	s_delay_alu instid0(SALU_CYCLE_1) | instskip(SKIP_2) | instid1(SALU_CYCLE_1)
	s_or_b32 exec_lo, exec_lo, s91
	v_and_b32_e32 v42, 0x7fffffff, v37
                                        ; implicit-def: $sgpr8
	s_and_saveexec_b32 s7, s6
	s_xor_b32 s6, exec_lo, s7
; %bb.112:                              ;   in Loop: Header=BB8_40 Depth=2
	v_lshlrev_b64 v[16:17], 2, v[18:19]
	s_mov_b32 s8, 0
; %bb.113:                              ;   in Loop: Header=BB8_40 Depth=2
	s_or_saveexec_b32 s7, s6
	v_dual_mov_b32 v38, s8 :: v_dual_mov_b32 v21, s8
	s_xor_b32 exec_lo, exec_lo, s7
	s_cbranch_execz .LBB8_117
; %bb.114:                              ;   in Loop: Header=BB8_40 Depth=2
	v_add_co_u32 v18, vcc_lo, s37, v16
	v_add_co_ci_u32_e32 v19, vcc_lo, s86, v17, vcc_lo
	v_dual_mov_b32 v38, 0 :: v_dual_mov_b32 v21, 0
	s_mov_b32 s91, 0
	s_mov_b64 s[8:9], s[42:43]
	s_mov_b32 s92, s36
	s_set_inst_prefetch_distance 0x1
	.p2align	6
.LBB8_115:                              ;   Parent Loop BB8_4 Depth=1
                                        ;     Parent Loop BB8_40 Depth=2
                                        ; =>    This Inner Loop Header: Depth=3
	global_load_b32 v20, v[18:19], off
	s_add_i32 s92, s92, -1
	s_waitcnt vmcnt(0)
	v_sub_f32_e32 v20, v20, v40
	global_store_b32 v[18:19], v20, off
	global_load_b32 v37, v2, s[8:9]
	v_add_co_u32 v18, s6, v18, -4
	s_delay_alu instid0(VALU_DEP_1)
	v_add_co_ci_u32_e64 v19, s6, -1, v19, s6
	s_add_u32 s8, s8, -4
	s_addc_u32 s9, s9, -1
	s_waitcnt vmcnt(0)
	v_div_scale_f32 v43, null, v20, v20, v37
	v_div_scale_f32 v46, vcc_lo, v37, v20, v37
	s_delay_alu instid0(VALU_DEP_2) | instskip(SKIP_2) | instid1(VALU_DEP_1)
	v_rcp_f32_e32 v44, v43
	s_waitcnt_depctr 0xfff
	v_fma_f32 v45, -v43, v44, 1.0
	v_fmac_f32_e32 v44, v45, v44
	s_delay_alu instid0(VALU_DEP_1) | instskip(NEXT) | instid1(VALU_DEP_1)
	v_mul_f32_e32 v45, v46, v44
	v_fma_f32 v47, -v43, v45, v46
	s_delay_alu instid0(VALU_DEP_1) | instskip(NEXT) | instid1(VALU_DEP_1)
	v_fmac_f32_e32 v45, v47, v44
	v_fma_f32 v43, -v43, v45, v46
	s_delay_alu instid0(VALU_DEP_1) | instskip(SKIP_1) | instid1(VALU_DEP_2)
	v_div_fmas_f32 v43, v43, v44, v45
	v_cmp_le_i32_e32 vcc_lo, s92, v11
	v_div_fixup_f32 v20, v43, v20, v37
	s_or_b32 s91, vcc_lo, s91
	s_delay_alu instid0(VALU_DEP_1) | instskip(SKIP_1) | instid1(VALU_DEP_2)
	v_fmac_f32_e32 v21, v37, v20
	v_fmac_f32_e32 v38, v20, v20
	v_add_f32_e32 v42, v42, v21
	s_and_not1_b32 exec_lo, exec_lo, s91
	s_cbranch_execnz .LBB8_115
; %bb.116:                              ;   in Loop: Header=BB8_40 Depth=2
	s_set_inst_prefetch_distance 0x2
	s_or_b32 exec_lo, exec_lo, s91
.LBB8_117:                              ;   in Loop: Header=BB8_40 Depth=2
	s_delay_alu instid0(SALU_CYCLE_1)
	s_or_b32 exec_lo, exec_lo, s7
	global_load_b32 v18, v[14:15], off
	global_load_b32 v37, v[12:13], off
	s_mov_b32 s92, 1
	s_mov_b32 s91, 0
                                        ; implicit-def: $sgpr93
                                        ; implicit-def: $sgpr95
	s_waitcnt vmcnt(0)
	v_div_scale_f32 v19, null, v37, v37, v18
	v_div_scale_f32 v47, vcc_lo, v18, v37, v18
	s_delay_alu instid0(VALU_DEP_2) | instskip(SKIP_2) | instid1(VALU_DEP_1)
	v_rcp_f32_e32 v20, v19
	s_waitcnt_depctr 0xfff
	v_fma_f32 v45, -v19, v20, 1.0
	v_dual_fmac_f32 v20, v45, v20 :: v_dual_and_b32 v43, 0x7fffffff, v39
	s_delay_alu instid0(VALU_DEP_1) | instskip(SKIP_1) | instid1(VALU_DEP_2)
	v_div_scale_f32 v44, null, 0x41200000, 0x41200000, v43
	v_div_scale_f32 v43, s6, v43, 0x41200000, v43
	v_rcp_f32_e32 v46, v44
	s_waitcnt_depctr 0xfff
	v_fma_f32 v48, -v44, v46, 1.0
	s_delay_alu instid0(VALU_DEP_1) | instskip(NEXT) | instid1(VALU_DEP_1)
	v_dual_mul_f32 v45, v47, v20 :: v_dual_fmac_f32 v46, v48, v46
	v_fma_f32 v49, -v19, v45, v47
	s_delay_alu instid0(VALU_DEP_1) | instskip(NEXT) | instid1(VALU_DEP_1)
	v_dual_mul_f32 v48, v43, v46 :: v_dual_fmac_f32 v45, v49, v20
	v_fma_f32 v19, -v19, v45, v47
	s_delay_alu instid0(VALU_DEP_2) | instskip(NEXT) | instid1(VALU_DEP_2)
	v_fma_f32 v47, -v44, v48, v43
	v_div_fmas_f32 v19, v19, v20, v45
	v_dual_add_f32 v20, v35, v40 :: v_dual_add_f32 v45, v30, v41
	s_delay_alu instid0(VALU_DEP_3) | instskip(NEXT) | instid1(VALU_DEP_3)
	v_dual_fmac_f32 v48, v47, v46 :: v_dual_sub_f32 v41, v21, v41
	v_div_fixup_f32 v40, v19, v37, v18
	v_add_f32_e32 v35, v36, v38
	s_delay_alu instid0(VALU_DEP_4) | instskip(NEXT) | instid1(VALU_DEP_4)
	v_add_f32_e32 v21, v45, v21
	v_fma_f32 v19, -v44, v48, v43
	v_fmamk_f32 v41, v41, 0x41000000, v31
	v_mul_f32_e32 v43, v18, v40
	s_mov_b32 vcc_lo, s6
	v_fmac_f32_e32 v35, v40, v40
	v_div_fmas_f32 v19, v19, v46, v48
	v_fmac_f32_e32 v21, v18, v40
	v_fma_f32 v18, 0x40400000, |v43|, v41
	v_add_co_u32 v16, vcc_lo, s37, v16
	s_delay_alu instid0(VALU_DEP_4) | instskip(NEXT) | instid1(VALU_DEP_4)
	v_div_fixup_f32 v19, v19, 0x41200000, |v39|
	v_cndmask_b32_e64 v39, v21, -v21, s2
	s_delay_alu instid0(VALU_DEP_4) | instskip(SKIP_1) | instid1(VALU_DEP_3)
	v_fma_f32 v18, |v20|, v35, v18
	v_add_co_ci_u32_e32 v17, vcc_lo, s86, v17, vcc_lo
	v_cmp_gt_f32_e64 s94, v39, v19
	s_delay_alu instid0(VALU_DEP_3)
	v_add_f32_e32 v18, v42, v18
	s_branch .LBB8_120
.LBB8_118:                              ;   in Loop: Header=BB8_120 Depth=3
	s_or_b32 exec_lo, exec_lo, s7
	global_load_b32 v18, v[14:15], off
	global_load_b32 v37, v[12:13], off
	s_add_i32 s92, s92, 1
	v_add_f32_e32 v20, v20, v39
	s_waitcnt vmcnt(0)
	v_div_scale_f32 v19, null, v37, v37, v18
	v_div_scale_f32 v47, vcc_lo, v18, v37, v18
	s_delay_alu instid0(VALU_DEP_2) | instskip(SKIP_2) | instid1(VALU_DEP_1)
	v_rcp_f32_e32 v43, v19
	s_waitcnt_depctr 0xfff
	v_fma_f32 v46, -v19, v43, 1.0
	v_dual_fmac_f32 v43, v46, v43 :: v_dual_and_b32 v40, 0x7fffffff, v21
	s_delay_alu instid0(VALU_DEP_1) | instskip(SKIP_1) | instid1(VALU_DEP_2)
	v_div_scale_f32 v44, null, 0x41200000, 0x41200000, v40
	v_div_scale_f32 v40, s6, v40, 0x41200000, v40
	v_rcp_f32_e32 v45, v44
	s_waitcnt_depctr 0xfff
	v_fma_f32 v46, -v44, v45, 1.0
	s_delay_alu instid0(VALU_DEP_1) | instskip(NEXT) | instid1(VALU_DEP_1)
	v_dual_mul_f32 v48, v47, v43 :: v_dual_fmac_f32 v45, v46, v45
	v_fma_f32 v46, -v19, v48, v47
	s_delay_alu instid0(VALU_DEP_1) | instskip(NEXT) | instid1(VALU_DEP_1)
	v_dual_mul_f32 v49, v40, v45 :: v_dual_fmac_f32 v48, v46, v43
	v_fma_f32 v46, -v44, v49, v40
	s_delay_alu instid0(VALU_DEP_2) | instskip(SKIP_1) | instid1(VALU_DEP_3)
	v_fma_f32 v19, -v19, v48, v47
	v_add_f32_e32 v47, v30, v35
	v_fmac_f32_e32 v49, v46, v45
	s_delay_alu instid0(VALU_DEP_3) | instskip(SKIP_1) | instid1(VALU_DEP_2)
	v_div_fmas_f32 v19, v19, v43, v48
	s_mov_b32 vcc_lo, s6
	v_fma_f32 v44, -v44, v49, v40
	s_delay_alu instid0(VALU_DEP_2) | instskip(SKIP_4) | instid1(VALU_DEP_4)
	v_div_fixup_f32 v40, v19, v37, v18
	v_add_f32_e32 v43, v47, v42
	v_sub_f32_e32 v19, v42, v35
	v_add_f32_e32 v35, v36, v38
	v_div_fmas_f32 v42, v44, v45, v49
	v_fmac_f32_e32 v43, v18, v40
	s_delay_alu instid0(VALU_DEP_4) | instskip(NEXT) | instid1(VALU_DEP_3)
	v_dual_mul_f32 v18, v18, v40 :: v_dual_fmamk_f32 v19, v19, 0x41000000, v31
	v_div_fixup_f32 v42, v42, 0x41200000, |v21|
	v_fmac_f32_e32 v35, v40, v40
	s_delay_alu instid0(VALU_DEP_4) | instskip(NEXT) | instid1(VALU_DEP_4)
	v_mul_f32_e32 v21, v21, v43
	v_fma_f32 v18, 0x40400000, |v18|, v19
	s_delay_alu instid0(VALU_DEP_4) | instskip(NEXT) | instid1(VALU_DEP_3)
	v_cmp_gt_f32_e64 s6, |v43|, v42
	v_cmp_lt_f32_e32 vcc_lo, 0, v21
	v_mov_b32_e32 v21, v43
	s_delay_alu instid0(VALU_DEP_4) | instskip(NEXT) | instid1(VALU_DEP_4)
	v_fma_f32 v18, |v20|, v35, v18
	s_and_b32 s6, vcc_lo, s6
	s_delay_alu instid0(SALU_CYCLE_1) | instskip(SKIP_1) | instid1(VALU_DEP_1)
	s_xor_b32 s6, s94, s6
	s_cmp_eq_u32 s92, 50
	v_add_f32_e32 v18, v41, v18
	s_cselect_b32 s7, -1, 0
	s_and_not1_b32 s8, s95, exec_lo
	s_and_b32 s6, s6, exec_lo
	s_and_not1_b32 s9, s93, exec_lo
	s_and_b32 s7, s7, exec_lo
	s_or_b32 s95, s8, s6
	s_or_b32 s93, s9, s7
                                        ; implicit-def: $sgpr94
.LBB8_119:                              ;   in Loop: Header=BB8_120 Depth=3
	s_or_b32 exec_lo, exec_lo, s96
	s_delay_alu instid0(SALU_CYCLE_1) | instskip(NEXT) | instid1(SALU_CYCLE_1)
	s_and_b32 s6, exec_lo, s93
	s_or_b32 s91, s6, s91
	s_and_not1_b32 s6, s94, exec_lo
	s_and_b32 s7, s95, exec_lo
	s_delay_alu instid0(SALU_CYCLE_1)
	s_or_b32 s94, s6, s7
	s_and_not1_b32 exec_lo, exec_lo, s91
	s_cbranch_execz .LBB8_163
.LBB8_120:                              ;   Parent Loop BB8_4 Depth=1
                                        ;     Parent Loop BB8_40 Depth=2
                                        ; =>    This Loop Header: Depth=3
                                        ;         Child Loop BB8_157 Depth 4
                                        ;         Child Loop BB8_161 Depth 4
	s_delay_alu instid0(VALU_DEP_1) | instskip(SKIP_2) | instid1(VALU_DEP_1)
	v_mul_f32_e32 v18, s45, v18
	s_and_not1_b32 s95, s95, exec_lo
	s_or_b32 s93, s93, exec_lo
	v_cmp_nle_f32_e64 s6, |v21|, v18
                                        ; implicit-def: $vgpr18
	s_delay_alu instid0(VALU_DEP_1)
	s_and_saveexec_b32 s96, s6
	s_cbranch_execz .LBB8_119
; %bb.121:                              ;   in Loop: Header=BB8_120 Depth=3
	global_load_b64 v[18:19], v[7:8], off
	s_xor_b32 s7, s94, -1
                                        ; implicit-def: $vgpr42
	s_delay_alu instid0(SALU_CYCLE_1) | instskip(NEXT) | instid1(SALU_CYCLE_1)
	s_and_saveexec_b32 s6, s7
	s_xor_b32 s6, exec_lo, s6
	s_cbranch_execz .LBB8_123
; %bb.122:                              ;   in Loop: Header=BB8_120 Depth=3
	v_fma_f32 v39, v40, v40, v36
	v_fma_f32 v40, v40, v40, v38
	s_delay_alu instid0(VALU_DEP_2) | instskip(NEXT) | instid1(VALU_DEP_2)
	v_cndmask_b32_e64 v36, v36, v39, s2
	v_cndmask_b32_e64 v38, v40, v38, s2
	s_waitcnt vmcnt(0)
	s_delay_alu instid0(VALU_DEP_2) | instskip(NEXT) | instid1(VALU_DEP_1)
	v_fma_f32 v39, -v36, v18, v21
	v_fma_f32 v42, -v38, v19, v39
.LBB8_123:                              ;   in Loop: Header=BB8_120 Depth=3
	s_and_not1_saveexec_b32 s6, s6
	s_cbranch_execz .LBB8_129
; %bb.124:                              ;   in Loop: Header=BB8_120 Depth=3
                                        ; implicit-def: $vgpr42
	s_and_saveexec_b32 s8, s3
	s_delay_alu instid0(SALU_CYCLE_1)
	s_xor_b32 s8, exec_lo, s8
	s_cbranch_execz .LBB8_126
; %bb.125:                              ;   in Loop: Header=BB8_120 Depth=3
	global_load_b32 v39, v[9:10], off offset:4
	s_waitcnt vmcnt(0)
	v_mul_f32_e32 v40, v32, v39
	s_delay_alu instid0(VALU_DEP_1) | instskip(NEXT) | instid1(VALU_DEP_1)
	v_mul_f32_e32 v39, v39, v40
	v_div_scale_f32 v40, null, v19, v19, v39
	v_div_scale_f32 v43, vcc_lo, v39, v19, v39
	s_delay_alu instid0(VALU_DEP_2) | instskip(SKIP_2) | instid1(VALU_DEP_1)
	v_rcp_f32_e32 v41, v40
	s_waitcnt_depctr 0xfff
	v_fma_f32 v42, -v40, v41, 1.0
	v_fmac_f32_e32 v41, v42, v41
	s_delay_alu instid0(VALU_DEP_1) | instskip(NEXT) | instid1(VALU_DEP_1)
	v_mul_f32_e32 v42, v43, v41
	v_fma_f32 v44, -v40, v42, v43
	s_delay_alu instid0(VALU_DEP_1) | instskip(NEXT) | instid1(VALU_DEP_1)
	v_fmac_f32_e32 v42, v44, v41
	v_fma_f32 v40, -v40, v42, v43
	s_delay_alu instid0(VALU_DEP_1) | instskip(NEXT) | instid1(VALU_DEP_1)
	v_div_fmas_f32 v40, v40, v41, v42
	v_div_fixup_f32 v39, v40, v19, v39
	s_delay_alu instid0(VALU_DEP_1) | instskip(NEXT) | instid1(VALU_DEP_1)
	v_div_scale_f32 v40, null, v19, v19, v39
	v_rcp_f32_e32 v41, v40
	s_waitcnt_depctr 0xfff
	v_fma_f32 v42, -v40, v41, 1.0
	s_delay_alu instid0(VALU_DEP_1) | instskip(SKIP_1) | instid1(VALU_DEP_1)
	v_fmac_f32_e32 v41, v42, v41
	v_div_scale_f32 v42, vcc_lo, v39, v19, v39
	v_mul_f32_e32 v43, v42, v41
	s_delay_alu instid0(VALU_DEP_1) | instskip(NEXT) | instid1(VALU_DEP_1)
	v_fma_f32 v44, -v40, v43, v42
	v_fmac_f32_e32 v43, v44, v41
	s_delay_alu instid0(VALU_DEP_1) | instskip(NEXT) | instid1(VALU_DEP_1)
	v_fma_f32 v40, -v40, v43, v42
	v_div_fmas_f32 v40, v40, v41, v43
	v_fma_f32 v41, -v35, v18, v21
	s_delay_alu instid0(VALU_DEP_2) | instskip(NEXT) | instid1(VALU_DEP_1)
	v_div_fixup_f32 v39, v40, v19, v39
	v_sub_f32_e32 v42, v41, v39
.LBB8_126:                              ;   in Loop: Header=BB8_120 Depth=3
	s_and_not1_saveexec_b32 s8, s8
	s_cbranch_execz .LBB8_128
; %bb.127:                              ;   in Loop: Header=BB8_120 Depth=3
	global_load_b32 v39, v[9:10], off
	s_waitcnt vmcnt(0)
	v_mul_f32_e32 v40, v34, v39
	s_delay_alu instid0(VALU_DEP_1) | instskip(NEXT) | instid1(VALU_DEP_1)
	v_mul_f32_e32 v39, v39, v40
	v_div_scale_f32 v40, null, v18, v18, v39
	v_div_scale_f32 v43, vcc_lo, v39, v18, v39
	s_delay_alu instid0(VALU_DEP_2) | instskip(SKIP_2) | instid1(VALU_DEP_1)
	v_rcp_f32_e32 v41, v40
	s_waitcnt_depctr 0xfff
	v_fma_f32 v42, -v40, v41, 1.0
	v_fmac_f32_e32 v41, v42, v41
	s_delay_alu instid0(VALU_DEP_1) | instskip(NEXT) | instid1(VALU_DEP_1)
	v_mul_f32_e32 v42, v43, v41
	v_fma_f32 v44, -v40, v42, v43
	s_delay_alu instid0(VALU_DEP_1) | instskip(NEXT) | instid1(VALU_DEP_1)
	v_fmac_f32_e32 v42, v44, v41
	v_fma_f32 v40, -v40, v42, v43
	s_delay_alu instid0(VALU_DEP_1) | instskip(NEXT) | instid1(VALU_DEP_1)
	v_div_fmas_f32 v40, v40, v41, v42
	v_div_fixup_f32 v39, v40, v18, v39
	s_delay_alu instid0(VALU_DEP_1) | instskip(NEXT) | instid1(VALU_DEP_1)
	v_div_scale_f32 v40, null, v18, v18, v39
	v_rcp_f32_e32 v41, v40
	s_waitcnt_depctr 0xfff
	v_fma_f32 v42, -v40, v41, 1.0
	s_delay_alu instid0(VALU_DEP_1) | instskip(SKIP_1) | instid1(VALU_DEP_1)
	v_fmac_f32_e32 v41, v42, v41
	v_div_scale_f32 v42, vcc_lo, v39, v18, v39
	v_mul_f32_e32 v43, v42, v41
	s_delay_alu instid0(VALU_DEP_1) | instskip(NEXT) | instid1(VALU_DEP_1)
	v_fma_f32 v44, -v40, v43, v42
	v_fmac_f32_e32 v43, v44, v41
	s_delay_alu instid0(VALU_DEP_1) | instskip(NEXT) | instid1(VALU_DEP_1)
	v_fma_f32 v40, -v40, v43, v42
	v_div_fmas_f32 v40, v40, v41, v43
	v_fma_f32 v41, -v35, v19, v21
	s_delay_alu instid0(VALU_DEP_2) | instskip(NEXT) | instid1(VALU_DEP_1)
	v_div_fixup_f32 v39, v40, v18, v39
	v_sub_f32_e32 v42, v41, v39
.LBB8_128:                              ;   in Loop: Header=BB8_120 Depth=3
	s_or_b32 exec_lo, exec_lo, s8
.LBB8_129:                              ;   in Loop: Header=BB8_120 Depth=3
	s_delay_alu instid0(SALU_CYCLE_1) | instskip(SKIP_4) | instid1(VALU_DEP_2)
	s_or_b32 exec_lo, exec_lo, s6
	s_waitcnt vmcnt(0)
	v_mul_f32_e32 v39, v18, v19
	v_add_f32_e32 v41, v18, v19
	s_mov_b32 s6, exec_lo
	v_mul_f32_e32 v43, v35, v39
	v_mul_f32_e32 v40, v21, v39
                                        ; implicit-def: $vgpr39
	s_delay_alu instid0(VALU_DEP_2)
	v_fma_f32 v41, v21, v41, -v43
	v_cmpx_neq_f32_e32 0, v42
	s_xor_b32 s8, exec_lo, s6
	s_cbranch_execz .LBB8_135
; %bb.130:                              ;   in Loop: Header=BB8_120 Depth=3
	v_mul_f32_e32 v18, -4.0, v40
	s_delay_alu instid0(VALU_DEP_1) | instskip(NEXT) | instid1(VALU_DEP_1)
	v_mul_f32_e32 v18, v18, v42
	v_fmac_f32_e32 v18, v41, v41
	s_delay_alu instid0(VALU_DEP_1) | instskip(SKIP_1) | instid1(VALU_DEP_1)
	v_mul_f32_e64 v19, 0x4f800000, |v18|
	v_cmp_gt_f32_e64 vcc_lo, 0xf800000, |v18|
	v_cndmask_b32_e64 v18, |v18|, v19, vcc_lo
	s_delay_alu instid0(VALU_DEP_1) | instskip(SKIP_3) | instid1(VALU_DEP_2)
	v_sqrt_f32_e32 v19, v18
	s_waitcnt_depctr 0xfff
	v_add_nc_u32_e32 v36, -1, v19
	v_add_nc_u32_e32 v38, 1, v19
	v_fma_f32 v39, -v36, v19, v18
	s_delay_alu instid0(VALU_DEP_2) | instskip(NEXT) | instid1(VALU_DEP_2)
	v_fma_f32 v43, -v38, v19, v18
	v_cmp_ge_f32_e64 s6, 0, v39
                                        ; implicit-def: $vgpr39
	s_delay_alu instid0(VALU_DEP_1) | instskip(NEXT) | instid1(VALU_DEP_3)
	v_cndmask_b32_e64 v19, v19, v36, s6
	v_cmp_lt_f32_e64 s6, 0, v43
	s_delay_alu instid0(VALU_DEP_1) | instskip(SKIP_1) | instid1(VALU_DEP_1)
	v_cndmask_b32_e64 v19, v19, v38, s6
	s_mov_b32 s6, exec_lo
	v_mul_f32_e32 v36, 0x37800000, v19
	s_delay_alu instid0(VALU_DEP_1) | instskip(SKIP_1) | instid1(VALU_DEP_2)
	v_cndmask_b32_e32 v19, v19, v36, vcc_lo
	v_cmp_class_f32_e64 vcc_lo, v18, 0x260
	v_cndmask_b32_e32 v18, v19, v18, vcc_lo
	v_cmpx_ge_f32_e32 0, v41
	s_xor_b32 s6, exec_lo, s6
	s_cbranch_execz .LBB8_132
; %bb.131:                              ;   in Loop: Header=BB8_120 Depth=3
	s_delay_alu instid0(VALU_DEP_2) | instskip(SKIP_1) | instid1(VALU_DEP_1)
	v_sub_f32_e32 v18, v41, v18
	v_add_f32_e32 v19, v42, v42
	v_div_scale_f32 v36, null, v19, v19, v18
	s_delay_alu instid0(VALU_DEP_1) | instskip(SKIP_2) | instid1(VALU_DEP_1)
	v_rcp_f32_e32 v38, v36
	s_waitcnt_depctr 0xfff
	v_fma_f32 v39, -v36, v38, 1.0
	v_fmac_f32_e32 v38, v39, v38
	v_div_scale_f32 v39, vcc_lo, v18, v19, v18
	s_delay_alu instid0(VALU_DEP_1) | instskip(NEXT) | instid1(VALU_DEP_1)
	v_mul_f32_e32 v40, v39, v38
	v_fma_f32 v41, -v36, v40, v39
	s_delay_alu instid0(VALU_DEP_1) | instskip(NEXT) | instid1(VALU_DEP_1)
	v_fmac_f32_e32 v40, v41, v38
                                        ; implicit-def: $vgpr41
	v_fma_f32 v36, -v36, v40, v39
	s_delay_alu instid0(VALU_DEP_1) | instskip(NEXT) | instid1(VALU_DEP_1)
	v_div_fmas_f32 v36, v36, v38, v40
                                        ; implicit-def: $vgpr40
	v_div_fixup_f32 v39, v36, v19, v18
                                        ; implicit-def: $vgpr18
.LBB8_132:                              ;   in Loop: Header=BB8_120 Depth=3
	s_and_not1_saveexec_b32 s6, s6
	s_cbranch_execz .LBB8_134
; %bb.133:                              ;   in Loop: Header=BB8_120 Depth=3
	v_dual_add_f32 v19, v40, v40 :: v_dual_add_f32 v18, v41, v18
	s_delay_alu instid0(VALU_DEP_1) | instskip(NEXT) | instid1(VALU_DEP_1)
	v_div_scale_f32 v36, null, v18, v18, v19
	v_rcp_f32_e32 v38, v36
	s_waitcnt_depctr 0xfff
	v_fma_f32 v39, -v36, v38, 1.0
	s_delay_alu instid0(VALU_DEP_1) | instskip(SKIP_1) | instid1(VALU_DEP_1)
	v_fmac_f32_e32 v38, v39, v38
	v_div_scale_f32 v39, vcc_lo, v19, v18, v19
	v_mul_f32_e32 v40, v39, v38
	s_delay_alu instid0(VALU_DEP_1) | instskip(NEXT) | instid1(VALU_DEP_1)
	v_fma_f32 v41, -v36, v40, v39
	v_fmac_f32_e32 v40, v41, v38
	s_delay_alu instid0(VALU_DEP_1) | instskip(NEXT) | instid1(VALU_DEP_1)
	v_fma_f32 v36, -v36, v40, v39
	v_div_fmas_f32 v36, v36, v38, v40
	s_delay_alu instid0(VALU_DEP_1)
	v_div_fixup_f32 v39, v36, v18, v19
.LBB8_134:                              ;   in Loop: Header=BB8_120 Depth=3
	s_or_b32 exec_lo, exec_lo, s6
                                        ; implicit-def: $vgpr41
                                        ; implicit-def: $vgpr40
                                        ; implicit-def: $vgpr18_vgpr19
                                        ; implicit-def: $vgpr38
                                        ; implicit-def: $vgpr36
.LBB8_135:                              ;   in Loop: Header=BB8_120 Depth=3
	s_and_not1_saveexec_b32 s6, s8
	s_cbranch_execz .LBB8_147
; %bb.136:                              ;   in Loop: Header=BB8_120 Depth=3
	s_mov_b32 s8, exec_lo
	v_cmpx_eq_f32_e32 0, v41
	s_cbranch_execz .LBB8_146
; %bb.137:                              ;   in Loop: Header=BB8_120 Depth=3
                                        ; implicit-def: $vgpr41
	s_and_saveexec_b32 s9, s7
	s_delay_alu instid0(SALU_CYCLE_1)
	s_xor_b32 s7, exec_lo, s9
; %bb.138:                              ;   in Loop: Header=BB8_120 Depth=3
	v_dual_mul_f32 v19, v19, v19 :: v_dual_mul_f32 v18, v18, v18
	s_delay_alu instid0(VALU_DEP_1) | instskip(NEXT) | instid1(VALU_DEP_1)
	v_mul_f32_e32 v41, v19, v38
                                        ; implicit-def: $vgpr38
	v_fmac_f32_e32 v41, v18, v36
                                        ; implicit-def: $vgpr18_vgpr19
                                        ; implicit-def: $vgpr36
; %bb.139:                              ;   in Loop: Header=BB8_120 Depth=3
	s_and_not1_saveexec_b32 s7, s7
	s_cbranch_execz .LBB8_145
; %bb.140:                              ;   in Loop: Header=BB8_120 Depth=3
	v_add_f32_e32 v36, v36, v38
                                        ; implicit-def: $vgpr41
	s_and_saveexec_b32 s9, s3
	s_delay_alu instid0(SALU_CYCLE_1)
	s_xor_b32 s9, exec_lo, s9
	s_cbranch_execz .LBB8_142
; %bb.141:                              ;   in Loop: Header=BB8_120 Depth=3
	global_load_b32 v19, v[9:10], off offset:4
	s_waitcnt vmcnt(0)
	v_dual_mul_f32 v18, v18, v18 :: v_dual_mul_f32 v41, v19, v19
	s_delay_alu instid0(VALU_DEP_1)
	v_fmac_f32_e32 v41, v18, v36
                                        ; implicit-def: $vgpr18_vgpr19
                                        ; implicit-def: $vgpr36
.LBB8_142:                              ;   in Loop: Header=BB8_120 Depth=3
	s_and_not1_saveexec_b32 s9, s9
	s_cbranch_execz .LBB8_144
; %bb.143:                              ;   in Loop: Header=BB8_120 Depth=3
	global_load_b32 v18, v[9:10], off
	s_waitcnt vmcnt(0)
	v_dual_mul_f32 v41, v18, v18 :: v_dual_mul_f32 v18, v19, v19
	s_delay_alu instid0(VALU_DEP_1)
	v_fmac_f32_e32 v41, v18, v36
.LBB8_144:                              ;   in Loop: Header=BB8_120 Depth=3
	s_or_b32 exec_lo, exec_lo, s9
.LBB8_145:                              ;   in Loop: Header=BB8_120 Depth=3
	s_delay_alu instid0(SALU_CYCLE_1)
	s_or_b32 exec_lo, exec_lo, s7
.LBB8_146:                              ;   in Loop: Header=BB8_120 Depth=3
	s_delay_alu instid0(SALU_CYCLE_1) | instskip(NEXT) | instid1(VALU_DEP_1)
	s_or_b32 exec_lo, exec_lo, s8
	v_div_scale_f32 v18, null, v41, v41, v40
	s_delay_alu instid0(VALU_DEP_1) | instskip(SKIP_2) | instid1(VALU_DEP_1)
	v_rcp_f32_e32 v19, v18
	s_waitcnt_depctr 0xfff
	v_fma_f32 v36, -v18, v19, 1.0
	v_fmac_f32_e32 v19, v36, v19
	v_div_scale_f32 v36, vcc_lo, v40, v41, v40
	s_delay_alu instid0(VALU_DEP_1) | instskip(NEXT) | instid1(VALU_DEP_1)
	v_mul_f32_e32 v38, v36, v19
	v_fma_f32 v39, -v18, v38, v36
	s_delay_alu instid0(VALU_DEP_1) | instskip(NEXT) | instid1(VALU_DEP_1)
	v_fmac_f32_e32 v38, v39, v19
	v_fma_f32 v18, -v18, v38, v36
	s_delay_alu instid0(VALU_DEP_1) | instskip(NEXT) | instid1(VALU_DEP_1)
	v_div_fmas_f32 v18, v18, v19, v38
	v_div_fixup_f32 v39, v18, v41, v40
.LBB8_147:                              ;   in Loop: Header=BB8_120 Depth=3
	s_or_b32 exec_lo, exec_lo, s6
	s_delay_alu instid0(VALU_DEP_1) | instskip(SKIP_1) | instid1(VALU_DEP_1)
	v_mul_f32_e32 v18, v21, v39
	s_mov_b32 s6, exec_lo
	v_cmpx_le_f32_e32 0, v18
; %bb.148:                              ;   in Loop: Header=BB8_120 Depth=3
	v_div_scale_f32 v18, null, v35, v35, -v21
	s_delay_alu instid0(VALU_DEP_1) | instskip(SKIP_2) | instid1(VALU_DEP_1)
	v_rcp_f32_e32 v19, v18
	s_waitcnt_depctr 0xfff
	v_fma_f32 v36, -v18, v19, 1.0
	v_fmac_f32_e32 v19, v36, v19
	v_div_scale_f32 v36, vcc_lo, -v21, v35, -v21
	s_delay_alu instid0(VALU_DEP_1) | instskip(NEXT) | instid1(VALU_DEP_1)
	v_mul_f32_e32 v38, v36, v19
	v_fma_f32 v39, -v18, v38, v36
	s_delay_alu instid0(VALU_DEP_1) | instskip(NEXT) | instid1(VALU_DEP_1)
	v_fmac_f32_e32 v38, v39, v19
	v_fma_f32 v18, -v18, v38, v36
	s_delay_alu instid0(VALU_DEP_1) | instskip(NEXT) | instid1(VALU_DEP_1)
	v_div_fmas_f32 v18, v18, v19, v38
	v_div_fixup_f32 v39, v18, v35, -v21
; %bb.149:                              ;   in Loop: Header=BB8_120 Depth=3
	s_or_b32 exec_lo, exec_lo, s6
	v_cmp_lt_f32_e32 vcc_lo, 0, v21
	v_cmp_lt_f32_e64 s6, v20, v22
	v_cmp_lt_f32_e64 s7, v23, v20
	v_add_f32_e32 v19, v20, v39
	s_delay_alu instid0(VALU_DEP_3) | instskip(NEXT) | instid1(VALU_DEP_2)
	s_and_b32 vcc_lo, vcc_lo, s6
	v_cndmask_b32_e64 v18, v23, v20, s7
	v_cndmask_b32_e32 v22, v22, v20, vcc_lo
	v_cmp_nge_f32_e32 vcc_lo, 0, v21
	s_delay_alu instid0(VALU_DEP_3) | instskip(NEXT) | instid1(VALU_DEP_3)
	v_cndmask_b32_e32 v23, v18, v23, vcc_lo
	v_cmp_gt_f32_e32 vcc_lo, v19, v22
	s_delay_alu instid0(VALU_DEP_2) | instskip(NEXT) | instid1(VALU_DEP_1)
	v_cmp_lt_f32_e64 s6, v19, v23
	s_or_b32 s7, vcc_lo, s6
	s_delay_alu instid0(SALU_CYCLE_1)
	s_and_saveexec_b32 s6, s7
	s_cbranch_execz .LBB8_155
; %bb.150:                              ;   in Loop: Header=BB8_120 Depth=3
	s_mov_b32 s7, exec_lo
                                        ; implicit-def: $vgpr39
	v_cmpx_ngt_f32_e32 0, v21
	s_xor_b32 s7, exec_lo, s7
; %bb.151:                              ;   in Loop: Header=BB8_120 Depth=3
	v_sub_f32_e32 v18, v23, v20
	s_delay_alu instid0(VALU_DEP_1)
	v_mul_f32_e32 v39, 0.5, v18
; %bb.152:                              ;   in Loop: Header=BB8_120 Depth=3
	s_and_not1_saveexec_b32 s7, s7
; %bb.153:                              ;   in Loop: Header=BB8_120 Depth=3
	v_sub_f32_e32 v18, v22, v20
	s_delay_alu instid0(VALU_DEP_1)
	v_mul_f32_e32 v39, 0.5, v18
; %bb.154:                              ;   in Loop: Header=BB8_120 Depth=3
	s_or_b32 exec_lo, exec_lo, s7
.LBB8_155:                              ;   in Loop: Header=BB8_120 Depth=3
	s_delay_alu instid0(SALU_CYCLE_1) | instskip(NEXT) | instid1(VALU_DEP_1)
	s_or_b32 exec_lo, exec_lo, s6
	v_dual_sub_f32 v18, v37, v39 :: v_dual_mov_b32 v37, 0
	v_dual_mov_b32 v36, 0 :: v_dual_mov_b32 v35, 0
	global_store_b32 v[12:13], v18, off
	s_and_saveexec_b32 s7, s5
	s_cbranch_execz .LBB8_159
; %bb.156:                              ;   in Loop: Header=BB8_120 Depth=3
	v_dual_mov_b32 v36, 0 :: v_dual_mov_b32 v19, v6
	v_dual_mov_b32 v18, v5 :: v_dual_mov_b32 v37, 0
	;; [unrolled: 1-line block ×3, first 2 shown]
	s_mov_b32 s97, 0
	s_mov_b64 s[8:9], s[34:35]
	s_set_inst_prefetch_distance 0x1
	.p2align	6
.LBB8_157:                              ;   Parent Loop BB8_4 Depth=1
                                        ;     Parent Loop BB8_40 Depth=2
                                        ;       Parent Loop BB8_120 Depth=3
                                        ; =>      This Inner Loop Header: Depth=4
	global_load_b32 v40, v[18:19], off
	v_add_nc_u32_e32 v38, -1, v38
	s_waitcnt vmcnt(0)
	v_sub_f32_e32 v40, v40, v39
	global_store_b32 v[18:19], v40, off
	global_load_b32 v41, v2, s[8:9]
	v_add_co_u32 v18, s6, v18, 4
	s_delay_alu instid0(VALU_DEP_1)
	v_add_co_ci_u32_e64 v19, s6, 0, v19, s6
	s_add_u32 s8, s8, 4
	s_addc_u32 s9, s9, 0
	s_waitcnt vmcnt(0)
	v_div_scale_f32 v42, null, v40, v40, v41
	v_div_scale_f32 v44, vcc_lo, v41, v40, v41
	s_delay_alu instid0(VALU_DEP_2) | instskip(SKIP_2) | instid1(VALU_DEP_1)
	v_rcp_f32_e32 v43, v42
	s_waitcnt_depctr 0xfff
	v_fma_f32 v45, -v42, v43, 1.0
	v_fmac_f32_e32 v43, v45, v43
	s_delay_alu instid0(VALU_DEP_1) | instskip(NEXT) | instid1(VALU_DEP_1)
	v_mul_f32_e32 v45, v44, v43
	v_fma_f32 v46, -v42, v45, v44
	s_delay_alu instid0(VALU_DEP_1) | instskip(NEXT) | instid1(VALU_DEP_1)
	v_fmac_f32_e32 v45, v46, v43
	v_fma_f32 v42, -v42, v45, v44
	s_delay_alu instid0(VALU_DEP_1) | instskip(SKIP_1) | instid1(VALU_DEP_2)
	v_div_fmas_f32 v42, v42, v43, v45
	v_cmp_eq_u32_e32 vcc_lo, 0, v38
	v_div_fixup_f32 v40, v42, v40, v41
	s_or_b32 s97, vcc_lo, s97
	s_delay_alu instid0(VALU_DEP_1) | instskip(SKIP_1) | instid1(VALU_DEP_1)
	v_fmac_f32_e32 v36, v40, v40
	v_fmac_f32_e32 v35, v41, v40
	v_add_f32_e32 v37, v37, v35
	s_and_not1_b32 exec_lo, exec_lo, s97
	s_cbranch_execnz .LBB8_157
; %bb.158:                              ;   in Loop: Header=BB8_120 Depth=3
	s_set_inst_prefetch_distance 0x2
	s_or_b32 exec_lo, exec_lo, s97
.LBB8_159:                              ;   in Loop: Header=BB8_120 Depth=3
	s_delay_alu instid0(SALU_CYCLE_1)
	s_or_b32 exec_lo, exec_lo, s7
	v_dual_mov_b32 v38, 0 :: v_dual_and_b32 v41, 0x7fffffff, v37
	v_mov_b32_e32 v42, 0
	s_and_saveexec_b32 s7, s4
	s_cbranch_execz .LBB8_118
; %bb.160:                              ;   in Loop: Header=BB8_120 Depth=3
	v_dual_mov_b32 v38, 0 :: v_dual_mov_b32 v19, v17
	v_mov_b32_e32 v18, v16
	v_mov_b32_e32 v42, 0
	s_mov_b32 s97, 0
	s_mov_b64 s[8:9], s[42:43]
	s_mov_b32 s98, s36
	s_set_inst_prefetch_distance 0x1
	.p2align	6
.LBB8_161:                              ;   Parent Loop BB8_4 Depth=1
                                        ;     Parent Loop BB8_40 Depth=2
                                        ;       Parent Loop BB8_120 Depth=3
                                        ; =>      This Inner Loop Header: Depth=4
	global_load_b32 v37, v[18:19], off
	s_add_i32 s98, s98, -1
	s_waitcnt vmcnt(0)
	v_sub_f32_e32 v37, v37, v39
	global_store_b32 v[18:19], v37, off
	global_load_b32 v40, v2, s[8:9]
	v_add_co_u32 v18, s6, v18, -4
	s_delay_alu instid0(VALU_DEP_1)
	v_add_co_ci_u32_e64 v19, s6, -1, v19, s6
	s_add_u32 s8, s8, -4
	s_addc_u32 s9, s9, -1
	s_waitcnt vmcnt(0)
	v_div_scale_f32 v43, null, v37, v37, v40
	v_div_scale_f32 v46, vcc_lo, v40, v37, v40
	s_delay_alu instid0(VALU_DEP_2) | instskip(SKIP_2) | instid1(VALU_DEP_1)
	v_rcp_f32_e32 v44, v43
	s_waitcnt_depctr 0xfff
	v_fma_f32 v45, -v43, v44, 1.0
	v_fmac_f32_e32 v44, v45, v44
	s_delay_alu instid0(VALU_DEP_1) | instskip(NEXT) | instid1(VALU_DEP_1)
	v_mul_f32_e32 v45, v46, v44
	v_fma_f32 v47, -v43, v45, v46
	s_delay_alu instid0(VALU_DEP_1) | instskip(NEXT) | instid1(VALU_DEP_1)
	v_fmac_f32_e32 v45, v47, v44
	v_fma_f32 v43, -v43, v45, v46
	s_delay_alu instid0(VALU_DEP_1) | instskip(SKIP_1) | instid1(VALU_DEP_2)
	v_div_fmas_f32 v43, v43, v44, v45
	v_cmp_le_i32_e32 vcc_lo, s98, v11
	v_div_fixup_f32 v37, v43, v37, v40
	s_or_b32 s97, vcc_lo, s97
	s_delay_alu instid0(VALU_DEP_1) | instskip(SKIP_1) | instid1(VALU_DEP_1)
	v_fmac_f32_e32 v38, v37, v37
	v_fmac_f32_e32 v42, v40, v37
	v_add_f32_e32 v41, v41, v42
	s_and_not1_b32 exec_lo, exec_lo, s97
	s_cbranch_execnz .LBB8_161
; %bb.162:                              ;   in Loop: Header=BB8_120 Depth=3
	s_set_inst_prefetch_distance 0x2
	s_or_b32 exec_lo, exec_lo, s97
	s_branch .LBB8_118
.LBB8_163:                              ;   in Loop: Header=BB8_40 Depth=2
	s_or_b32 exec_lo, exec_lo, s91
	v_add_f32_e32 v34, v33, v20
.LBB8_164:                              ;   in Loop: Header=BB8_40 Depth=2
	s_or_b32 exec_lo, exec_lo, s90
                                        ; implicit-def: $vgpr5_vgpr6
	s_and_not1_saveexec_b32 s5, s89
	s_cbranch_execz .LBB8_50
.LBB8_165:                              ;   in Loop: Header=BB8_40 Depth=2
	v_add_co_u32 v9, vcc_lo, v5, s38
	v_add_co_ci_u32_e32 v10, vcc_lo, s39, v6, vcc_lo
	s_and_not1_b32 vcc_lo, exec_lo, s83
	v_mov_b32_e32 v14, 0
	global_load_b64 v[7:8], v[9:10], off offset:-8
	s_waitcnt vmcnt(0)
	v_mov_b32_e32 v13, v8
	v_add_f32_e32 v15, v29, v8
	s_cbranch_vccnz .LBB8_168
; %bb.166:                              ;   in Loop: Header=BB8_40 Depth=2
	v_mov_b32_e32 v12, v6
	v_dual_mov_b32 v14, 0 :: v_dual_mov_b32 v11, v5
	s_mov_b64 s[2:3], s[34:35]
	s_mov_b32 s4, s82
	.p2align	6
.LBB8_167:                              ;   Parent Loop BB8_4 Depth=1
                                        ;     Parent Loop BB8_40 Depth=2
                                        ; =>    This Inner Loop Header: Depth=3
	global_load_b32 v16, v[11:12], off
	global_load_b32 v17, v2, s[2:3]
	s_add_i32 s4, s4, -1
	s_add_u32 s2, s2, 4
	s_addc_u32 s3, s3, 0
	s_cmp_lg_u32 s4, 0
	s_waitcnt vmcnt(1)
	v_sub_f32_e32 v16, v16, v15
	s_waitcnt vmcnt(0)
	s_delay_alu instid0(VALU_DEP_1) | instskip(SKIP_1) | instid1(VALU_DEP_2)
	v_div_scale_f32 v18, null, v16, v16, v17
	v_div_scale_f32 v21, vcc_lo, v17, v16, v17
	v_rcp_f32_e32 v19, v18
	s_waitcnt_depctr 0xfff
	v_fma_f32 v20, -v18, v19, 1.0
	s_delay_alu instid0(VALU_DEP_1) | instskip(NEXT) | instid1(VALU_DEP_1)
	v_fmac_f32_e32 v19, v20, v19
	v_mul_f32_e32 v20, v21, v19
	s_delay_alu instid0(VALU_DEP_1) | instskip(NEXT) | instid1(VALU_DEP_1)
	v_fma_f32 v22, -v18, v20, v21
	v_fmac_f32_e32 v20, v22, v19
	s_delay_alu instid0(VALU_DEP_1) | instskip(NEXT) | instid1(VALU_DEP_1)
	v_fma_f32 v18, -v18, v20, v21
	v_div_fmas_f32 v18, v18, v19, v20
	v_add_co_u32 v11, vcc_lo, v11, 4
	v_add_co_ci_u32_e32 v12, vcc_lo, 0, v12, vcc_lo
	s_delay_alu instid0(VALU_DEP_3) | instskip(NEXT) | instid1(VALU_DEP_1)
	v_div_fixup_f32 v16, v18, v16, v17
	v_fmac_f32_e32 v14, v17, v16
	s_cbranch_scc1 .LBB8_167
.LBB8_168:                              ;   in Loop: Header=BB8_40 Depth=2
	global_load_b64 v[16:17], v2, s[40:41] offset:-8
	s_waitcnt vmcnt(0)
	v_dual_sub_f32 v15, v7, v15 :: v_dual_mul_f32 v12, v16, v16
	s_delay_alu instid0(VALU_DEP_1) | instskip(SKIP_1) | instid1(VALU_DEP_2)
	v_div_scale_f32 v11, null, v15, v15, v12
	v_div_scale_f32 v18, vcc_lo, v12, v15, v12
	v_rcp_f32_e32 v19, v11
	s_waitcnt_depctr 0xfff
	v_fma_f32 v16, -v11, v19, 1.0
	s_delay_alu instid0(VALU_DEP_1) | instskip(NEXT) | instid1(VALU_DEP_1)
	v_fmac_f32_e32 v19, v16, v19
	v_mul_f32_e32 v20, v18, v19
	s_delay_alu instid0(VALU_DEP_1) | instskip(NEXT) | instid1(VALU_DEP_1)
	v_fma_f32 v16, -v11, v20, v18
	v_fmac_f32_e32 v20, v16, v19
	v_mul_f32_e32 v16, v17, v17
	s_delay_alu instid0(VALU_DEP_2) | instskip(SKIP_1) | instid1(VALU_DEP_2)
	v_fma_f32 v11, -v11, v20, v18
	v_add_f32_e32 v18, v30, v14
	v_div_fmas_f32 v14, v11, v19, v20
	s_delay_alu instid0(VALU_DEP_2) | instskip(NEXT) | instid1(VALU_DEP_2)
	v_add_f32_e32 v11, 0, v18
	v_div_fixup_f32 v14, v14, v15, v12
	s_delay_alu instid0(VALU_DEP_1) | instskip(NEXT) | instid1(VALU_DEP_1)
	v_dual_add_f32 v17, v16, v16 :: v_dual_add_f32 v14, v11, v14
	v_mul_f32_e32 v15, v30, v17
	v_sub_f32_e32 v17, v8, v7
                                        ; implicit-def: $vgpr7
	s_delay_alu instid0(VALU_DEP_2) | instskip(SKIP_1) | instid1(SALU_CYCLE_1)
	v_cmp_ngt_f32_e32 vcc_lo, v14, v15
                                        ; implicit-def: $vgpr15
                                        ; implicit-def: $vgpr14
	s_and_saveexec_b32 s2, vcc_lo
	s_xor_b32 s3, exec_lo, s2
	s_cbranch_execz .LBB8_176
; %bb.169:                              ;   in Loop: Header=BB8_40 Depth=2
	v_div_scale_f32 v15, null, v28, v28, v16
	s_delay_alu instid0(VALU_DEP_1) | instskip(SKIP_2) | instid1(VALU_DEP_1)
	v_rcp_f32_e32 v20, v15
	s_waitcnt_depctr 0xfff
	v_fma_f32 v22, -v15, v20, 1.0
	v_dual_add_f32 v7, v28, v17 :: v_dual_fmac_f32 v20, v22, v20
	s_delay_alu instid0(VALU_DEP_1) | instskip(SKIP_1) | instid1(VALU_DEP_2)
	v_div_scale_f32 v14, null, v7, v7, v12
	v_div_scale_f32 v23, vcc_lo, v12, v7, v12
	v_rcp_f32_e32 v19, v14
	s_waitcnt_depctr 0xfff
	v_fma_f32 v21, -v14, v19, 1.0
	s_delay_alu instid0(VALU_DEP_1) | instskip(SKIP_1) | instid1(VALU_DEP_1)
	v_fmac_f32_e32 v19, v21, v19
	v_div_scale_f32 v21, s2, v16, v28, v16
	v_mul_f32_e32 v32, v21, v20
	s_delay_alu instid0(VALU_DEP_1) | instskip(NEXT) | instid1(VALU_DEP_1)
	v_fma_f32 v34, -v15, v32, v21
	v_fmac_f32_e32 v32, v34, v20
	v_mul_f32_e32 v22, v23, v19
	s_delay_alu instid0(VALU_DEP_2) | instskip(NEXT) | instid1(VALU_DEP_2)
	v_fma_f32 v15, -v15, v32, v21
	v_fma_f32 v33, -v14, v22, v23
	s_delay_alu instid0(VALU_DEP_1) | instskip(NEXT) | instid1(VALU_DEP_1)
	v_fmac_f32_e32 v22, v33, v19
	v_fma_f32 v14, -v14, v22, v23
	s_delay_alu instid0(VALU_DEP_1) | instskip(SKIP_2) | instid1(VALU_DEP_2)
	v_div_fmas_f32 v14, v14, v19, v22
	s_mov_b32 vcc_lo, s2
	v_div_fmas_f32 v15, v15, v20, v32
	v_div_fixup_f32 v7, v14, v7, v12
	s_delay_alu instid0(VALU_DEP_2) | instskip(NEXT) | instid1(VALU_DEP_1)
	v_div_fixup_f32 v14, v15, v28, v16
	v_add_f32_e32 v7, v7, v14
	s_delay_alu instid0(VALU_DEP_1)
	v_cmp_nle_f32_e32 vcc_lo, v18, v7
	v_mov_b32_e32 v7, v28
	s_and_saveexec_b32 s4, vcc_lo
	s_cbranch_execz .LBB8_175
; %bb.170:                              ;   in Loop: Header=BB8_40 Depth=2
	v_mul_f32_e32 v14, v17, v16
	v_fma_f32 v7, -v17, v11, v12
	s_delay_alu instid0(VALU_DEP_1) | instskip(NEXT) | instid1(VALU_DEP_1)
	v_dual_mul_f32 v15, 4.0, v14 :: v_dual_add_f32 v12, v16, v7
	v_mul_f32_e32 v7, v11, v15
	s_delay_alu instid0(VALU_DEP_1) | instskip(NEXT) | instid1(VALU_DEP_1)
	v_fmac_f32_e32 v7, v12, v12
	v_mul_f32_e32 v15, 0x4f800000, v7
	v_cmp_gt_f32_e32 vcc_lo, 0xf800000, v7
	s_delay_alu instid0(VALU_DEP_2) | instskip(NEXT) | instid1(VALU_DEP_1)
	v_cndmask_b32_e32 v7, v7, v15, vcc_lo
	v_sqrt_f32_e32 v15, v7
	s_waitcnt_depctr 0xfff
	v_add_nc_u32_e32 v16, -1, v15
	v_add_nc_u32_e32 v17, 1, v15
	s_delay_alu instid0(VALU_DEP_2) | instskip(NEXT) | instid1(VALU_DEP_2)
	v_fma_f32 v18, -v16, v15, v7
	v_fma_f32 v19, -v17, v15, v7
	s_delay_alu instid0(VALU_DEP_2) | instskip(NEXT) | instid1(VALU_DEP_1)
	v_cmp_ge_f32_e64 s2, 0, v18
	v_cndmask_b32_e64 v15, v15, v16, s2
	s_delay_alu instid0(VALU_DEP_3) | instskip(NEXT) | instid1(VALU_DEP_1)
	v_cmp_lt_f32_e64 s2, 0, v19
	v_cndmask_b32_e64 v15, v15, v17, s2
	s_mov_b32 s2, exec_lo
	s_delay_alu instid0(VALU_DEP_1) | instskip(NEXT) | instid1(VALU_DEP_1)
	v_mul_f32_e32 v16, 0x37800000, v15
	v_cndmask_b32_e32 v15, v15, v16, vcc_lo
	v_cmp_class_f32_e64 vcc_lo, v7, 0x260
	s_delay_alu instid0(VALU_DEP_2)
	v_cndmask_b32_e32 v15, v15, v7, vcc_lo
                                        ; implicit-def: $vgpr7
	v_cmpx_ngt_f32_e32 0, v12
	s_xor_b32 s2, exec_lo, s2
	s_cbranch_execz .LBB8_172
; %bb.171:                              ;   in Loop: Header=BB8_40 Depth=2
	s_delay_alu instid0(VALU_DEP_2) | instskip(SKIP_1) | instid1(VALU_DEP_1)
	v_add_f32_e32 v7, v12, v15
	v_add_f32_e32 v11, v11, v11
	v_div_scale_f32 v12, null, v11, v11, v7
	s_delay_alu instid0(VALU_DEP_1) | instskip(SKIP_2) | instid1(VALU_DEP_1)
	v_rcp_f32_e32 v14, v12
	s_waitcnt_depctr 0xfff
	v_fma_f32 v15, -v12, v14, 1.0
	v_fmac_f32_e32 v14, v15, v14
	v_div_scale_f32 v15, vcc_lo, v7, v11, v7
	s_delay_alu instid0(VALU_DEP_1) | instskip(NEXT) | instid1(VALU_DEP_1)
	v_mul_f32_e32 v16, v15, v14
	v_fma_f32 v17, -v12, v16, v15
	s_delay_alu instid0(VALU_DEP_1) | instskip(NEXT) | instid1(VALU_DEP_1)
	v_fmac_f32_e32 v16, v17, v14
	v_fma_f32 v12, -v12, v16, v15
                                        ; implicit-def: $vgpr15
	s_delay_alu instid0(VALU_DEP_1) | instskip(NEXT) | instid1(VALU_DEP_1)
	v_div_fmas_f32 v12, v12, v14, v16
                                        ; implicit-def: $vgpr14
	v_div_fixup_f32 v7, v12, v11, v7
                                        ; implicit-def: $vgpr12
.LBB8_172:                              ;   in Loop: Header=BB8_40 Depth=2
	s_and_not1_saveexec_b32 s2, s2
	s_cbranch_execz .LBB8_174
; %bb.173:                              ;   in Loop: Header=BB8_40 Depth=2
	v_add_f32_e32 v7, v14, v14
	v_sub_f32_e32 v11, v15, v12
	s_delay_alu instid0(VALU_DEP_1) | instskip(NEXT) | instid1(VALU_DEP_1)
	v_div_scale_f32 v12, null, v11, v11, v7
	v_rcp_f32_e32 v14, v12
	s_waitcnt_depctr 0xfff
	v_fma_f32 v15, -v12, v14, 1.0
	s_delay_alu instid0(VALU_DEP_1) | instskip(SKIP_1) | instid1(VALU_DEP_1)
	v_fmac_f32_e32 v14, v15, v14
	v_div_scale_f32 v15, vcc_lo, v7, v11, v7
	v_mul_f32_e32 v16, v15, v14
	s_delay_alu instid0(VALU_DEP_1) | instskip(NEXT) | instid1(VALU_DEP_1)
	v_fma_f32 v17, -v12, v16, v15
	v_fmac_f32_e32 v16, v17, v14
	s_delay_alu instid0(VALU_DEP_1) | instskip(NEXT) | instid1(VALU_DEP_1)
	v_fma_f32 v12, -v12, v16, v15
	v_div_fmas_f32 v12, v12, v14, v16
	s_delay_alu instid0(VALU_DEP_1)
	v_div_fixup_f32 v7, v12, v11, v7
.LBB8_174:                              ;   in Loop: Header=BB8_40 Depth=2
	s_or_b32 exec_lo, exec_lo, s2
.LBB8_175:                              ;   in Loop: Header=BB8_40 Depth=2
	s_delay_alu instid0(SALU_CYCLE_1)
	s_or_b32 exec_lo, exec_lo, s4
	v_dual_mov_b32 v15, v28 :: v_dual_mov_b32 v14, v29
                                        ; implicit-def: $vgpr17
                                        ; implicit-def: $vgpr11
                                        ; implicit-def: $vgpr12
                                        ; implicit-def: $vgpr16
.LBB8_176:                              ;   in Loop: Header=BB8_40 Depth=2
	s_and_not1_saveexec_b32 s3, s3
	s_cbranch_execz .LBB8_182
; %bb.177:                              ;   in Loop: Header=BB8_40 Depth=2
	v_fma_f32 v7, -v17, v11, v12
	v_mul_f32_e32 v15, v17, v16
                                        ; implicit-def: $sgpr4
	s_delay_alu instid0(VALU_DEP_2) | instskip(NEXT) | instid1(VALU_DEP_2)
	v_add_f32_e32 v12, v16, v7
	v_mul_f32_e32 v14, 4.0, v15
	s_delay_alu instid0(VALU_DEP_1) | instskip(NEXT) | instid1(VALU_DEP_1)
	v_mul_f32_e32 v7, v11, v14
	v_fmac_f32_e32 v7, v12, v12
	s_delay_alu instid0(VALU_DEP_1) | instskip(SKIP_1) | instid1(VALU_DEP_2)
	v_mul_f32_e32 v14, 0x4f800000, v7
	v_cmp_gt_f32_e32 vcc_lo, 0xf800000, v7
	v_cndmask_b32_e32 v7, v7, v14, vcc_lo
	s_delay_alu instid0(VALU_DEP_1) | instskip(SKIP_3) | instid1(VALU_DEP_2)
	v_sqrt_f32_e32 v14, v7
	s_waitcnt_depctr 0xfff
	v_add_nc_u32_e32 v16, -1, v14
	v_add_nc_u32_e32 v17, 1, v14
	v_fma_f32 v18, -v16, v14, v7
	s_delay_alu instid0(VALU_DEP_2) | instskip(NEXT) | instid1(VALU_DEP_2)
	v_fma_f32 v19, -v17, v14, v7
	v_cmp_ge_f32_e64 s2, 0, v18
	s_delay_alu instid0(VALU_DEP_1) | instskip(NEXT) | instid1(VALU_DEP_3)
	v_cndmask_b32_e64 v14, v14, v16, s2
	v_cmp_lt_f32_e64 s2, 0, v19
	s_delay_alu instid0(VALU_DEP_1) | instskip(SKIP_1) | instid1(VALU_DEP_1)
	v_cndmask_b32_e64 v14, v14, v17, s2
	s_mov_b32 s2, exec_lo
	v_mul_f32_e32 v16, 0x37800000, v14
	s_delay_alu instid0(VALU_DEP_1) | instskip(SKIP_1) | instid1(VALU_DEP_2)
	v_cndmask_b32_e32 v14, v14, v16, vcc_lo
	v_cmp_class_f32_e64 vcc_lo, v7, 0x260
	v_cndmask_b32_e32 v16, v14, v7, vcc_lo
                                        ; implicit-def: $vgpr7
	v_cmpx_ngt_f32_e32 0, v12
	s_xor_b32 s2, exec_lo, s2
	s_cbranch_execz .LBB8_179
; %bb.178:                              ;   in Loop: Header=BB8_40 Depth=2
	s_delay_alu instid0(VALU_DEP_2) | instskip(SKIP_2) | instid1(VALU_DEP_1)
	v_add_f32_e32 v7, v12, v16
	v_add_f32_e32 v11, v11, v11
	s_mov_b32 s4, 0
	v_div_scale_f32 v12, null, v11, v11, v7
	s_delay_alu instid0(VALU_DEP_1) | instskip(SKIP_2) | instid1(VALU_DEP_1)
	v_rcp_f32_e32 v14, v12
	s_waitcnt_depctr 0xfff
	v_fma_f32 v15, -v12, v14, 1.0
	v_fmac_f32_e32 v14, v15, v14
	v_div_scale_f32 v15, vcc_lo, v7, v11, v7
	s_delay_alu instid0(VALU_DEP_1) | instskip(NEXT) | instid1(VALU_DEP_1)
	v_mul_f32_e32 v16, v15, v14
	v_fma_f32 v17, -v12, v16, v15
	s_delay_alu instid0(VALU_DEP_1) | instskip(NEXT) | instid1(VALU_DEP_1)
	v_fmac_f32_e32 v16, v17, v14
	v_fma_f32 v12, -v12, v16, v15
                                        ; implicit-def: $vgpr15
	s_delay_alu instid0(VALU_DEP_1) | instskip(NEXT) | instid1(VALU_DEP_1)
	v_div_fmas_f32 v12, v12, v14, v16
                                        ; implicit-def: $vgpr16
	v_div_fixup_f32 v7, v12, v11, v7
                                        ; implicit-def: $vgpr12
.LBB8_179:                              ;   in Loop: Header=BB8_40 Depth=2
	s_or_saveexec_b32 s2, s2
	v_mov_b32_e32 v14, s4
	s_xor_b32 exec_lo, exec_lo, s2
	s_cbranch_execz .LBB8_181
; %bb.180:                              ;   in Loop: Header=BB8_40 Depth=2
	v_add_f32_e32 v7, v15, v15
	v_sub_f32_e32 v11, v16, v12
	s_delay_alu instid0(VALU_DEP_1) | instskip(NEXT) | instid1(VALU_DEP_1)
	v_div_scale_f32 v12, null, v11, v11, v7
	v_rcp_f32_e32 v14, v12
	s_waitcnt_depctr 0xfff
	v_fma_f32 v15, -v12, v14, 1.0
	s_delay_alu instid0(VALU_DEP_1) | instskip(SKIP_1) | instid1(VALU_DEP_1)
	v_fmac_f32_e32 v14, v15, v14
	v_div_scale_f32 v16, vcc_lo, v7, v11, v7
	v_mul_f32_e32 v15, v16, v14
	s_delay_alu instid0(VALU_DEP_1) | instskip(NEXT) | instid1(VALU_DEP_1)
	v_fma_f32 v17, -v12, v15, v16
	v_fmac_f32_e32 v15, v17, v14
	s_delay_alu instid0(VALU_DEP_1) | instskip(NEXT) | instid1(VALU_DEP_1)
	v_fma_f32 v12, -v12, v15, v16
	v_div_fmas_f32 v12, v12, v14, v15
	v_mov_b32_e32 v14, 0
	s_delay_alu instid0(VALU_DEP_2)
	v_div_fixup_f32 v7, v12, v11, v7
.LBB8_181:                              ;   in Loop: Header=BB8_40 Depth=2
	s_or_b32 exec_lo, exec_lo, s2
	v_mov_b32_e32 v15, v29
.LBB8_182:                              ;   in Loop: Header=BB8_40 Depth=2
	s_or_b32 exec_lo, exec_lo, s3
	v_dual_mov_b32 v12, v6 :: v_dual_mov_b32 v11, v5
	s_and_not1_b32 vcc_lo, exec_lo, s29
	s_mov_b32 s2, s36
	s_cbranch_vccnz .LBB8_185
.LBB8_183:                              ;   Parent Loop BB8_4 Depth=1
                                        ;     Parent Loop BB8_40 Depth=2
                                        ; =>    This Inner Loop Header: Depth=3
	global_load_b32 v13, v[11:12], off
	s_add_i32 s2, s2, -1
	s_delay_alu instid0(SALU_CYCLE_1)
	s_cmp_eq_u32 s2, 0
	s_waitcnt vmcnt(0)
	v_sub_f32_e32 v13, v13, v8
	global_store_b32 v[11:12], v13, off
	v_add_co_u32 v11, vcc_lo, v11, 4
	v_add_co_ci_u32_e32 v12, vcc_lo, 0, v12, vcc_lo
	s_cbranch_scc0 .LBB8_183
; %bb.184:                              ;   in Loop: Header=BB8_40 Depth=2
	global_load_b32 v13, v[9:10], off offset:-4
.LBB8_185:                              ;   in Loop: Header=BB8_40 Depth=2
	s_waitcnt vmcnt(0)
	v_dual_sub_f32 v11, v13, v8 :: v_dual_mov_b32 v16, 0
	v_dual_mov_b32 v13, 0 :: v_dual_mov_b32 v18, 0
	s_and_not1_b32 vcc_lo, exec_lo, s29
	global_store_b32 v[9:10], v11, off offset:-4
	s_cbranch_vccnz .LBB8_189
; %bb.186:                              ;   in Loop: Header=BB8_40 Depth=2
	v_dual_mov_b32 v13, 0 :: v_dual_mov_b32 v12, v6
	v_dual_mov_b32 v11, v5 :: v_dual_mov_b32 v16, 0
	v_mov_b32_e32 v18, 0
	s_mov_b64 s[2:3], s[34:35]
	s_mov_b32 s4, s36
	s_set_inst_prefetch_distance 0x1
	.p2align	6
.LBB8_187:                              ;   Parent Loop BB8_4 Depth=1
                                        ;     Parent Loop BB8_40 Depth=2
                                        ; =>    This Inner Loop Header: Depth=3
	global_load_b32 v17, v[11:12], off
	s_add_i32 s4, s4, -1
	s_waitcnt vmcnt(0)
	v_sub_f32_e32 v17, v17, v7
	global_store_b32 v[11:12], v17, off
	global_load_b32 v19, v2, s[2:3]
	s_add_u32 s2, s2, 4
	s_addc_u32 s3, s3, 0
	s_cmp_eq_u32 s4, 0
	s_waitcnt vmcnt(0)
	v_div_scale_f32 v20, null, v17, v17, v19
	v_div_scale_f32 v23, vcc_lo, v19, v17, v19
	s_delay_alu instid0(VALU_DEP_2) | instskip(SKIP_2) | instid1(VALU_DEP_1)
	v_rcp_f32_e32 v21, v20
	s_waitcnt_depctr 0xfff
	v_fma_f32 v22, -v20, v21, 1.0
	v_fmac_f32_e32 v21, v22, v21
	s_delay_alu instid0(VALU_DEP_1) | instskip(NEXT) | instid1(VALU_DEP_1)
	v_mul_f32_e32 v22, v23, v21
	v_fma_f32 v32, -v20, v22, v23
	s_delay_alu instid0(VALU_DEP_1) | instskip(NEXT) | instid1(VALU_DEP_1)
	v_fmac_f32_e32 v22, v32, v21
	v_fma_f32 v20, -v20, v22, v23
	s_delay_alu instid0(VALU_DEP_1) | instskip(SKIP_2) | instid1(VALU_DEP_3)
	v_div_fmas_f32 v20, v20, v21, v22
	v_add_co_u32 v11, vcc_lo, v11, 4
	v_add_co_ci_u32_e32 v12, vcc_lo, 0, v12, vcc_lo
	v_div_fixup_f32 v17, v20, v17, v19
	s_delay_alu instid0(VALU_DEP_1) | instskip(NEXT) | instid1(VALU_DEP_1)
	v_fmac_f32_e32 v18, v19, v17
	v_dual_fmac_f32 v13, v17, v17 :: v_dual_add_f32 v16, v16, v18
	s_cbranch_scc0 .LBB8_187
; %bb.188:                              ;   in Loop: Header=BB8_40 Depth=2
	s_set_inst_prefetch_distance 0x2
	global_load_b32 v11, v[9:10], off offset:-4
.LBB8_189:                              ;   in Loop: Header=BB8_40 Depth=2
	s_waitcnt vmcnt(0)
	v_sub_f32_e32 v11, v11, v7
	s_mov_b32 s6, exec_lo
	global_store_b32 v[9:10], v11, off offset:-4
	global_load_b32 v12, v2, s[40:41] offset:-4
	s_waitcnt vmcnt(0)
	v_div_scale_f32 v17, null, v11, v11, v12
	s_delay_alu instid0(VALU_DEP_1) | instskip(SKIP_2) | instid1(VALU_DEP_1)
	v_rcp_f32_e32 v19, v17
	s_waitcnt_depctr 0xfff
	v_fma_f32 v20, -v17, v19, 1.0
	v_fmac_f32_e32 v19, v20, v19
	v_div_scale_f32 v20, vcc_lo, v12, v11, v12
	s_delay_alu instid0(VALU_DEP_1) | instskip(NEXT) | instid1(VALU_DEP_1)
	v_mul_f32_e32 v21, v20, v19
	v_fma_f32 v22, -v17, v21, v20
	s_delay_alu instid0(VALU_DEP_1) | instskip(NEXT) | instid1(VALU_DEP_1)
	v_fmac_f32_e32 v21, v22, v19
	v_fma_f32 v17, -v17, v21, v20
	s_delay_alu instid0(VALU_DEP_1) | instskip(NEXT) | instid1(VALU_DEP_1)
	v_div_fmas_f32 v17, v17, v19, v21
	v_div_fixup_f32 v19, v17, v11, v12
	s_delay_alu instid0(VALU_DEP_1) | instskip(SKIP_1) | instid1(VALU_DEP_2)
	v_fma_f32 v12, v12, v19, 0
	v_fma_f32 v17, v19, v19, v13
	v_add_f32_e32 v20, v18, v12
	v_add_f32_e64 v16, |v16|, v12
	v_add_f32_e32 v18, v30, v18
	s_delay_alu instid0(VALU_DEP_3) | instskip(NEXT) | instid1(VALU_DEP_1)
	v_mul_f32_e32 v20, 0xc1000000, v20
	v_fma_f32 v20, |v7|, v17, v20
	s_delay_alu instid0(VALU_DEP_1) | instskip(NEXT) | instid1(VALU_DEP_4)
	v_sub_f32_e32 v20, v20, v12
	v_add_f32_e32 v12, v18, v12
	s_delay_alu instid0(VALU_DEP_2) | instskip(NEXT) | instid1(VALU_DEP_1)
	v_add_f32_e32 v20, v30, v20
	v_add_f32_e32 v16, v16, v20
	s_delay_alu instid0(VALU_DEP_1) | instskip(NEXT) | instid1(VALU_DEP_1)
	v_mul_f32_e32 v16, s45, v16
	v_cmpx_nle_f32_e64 |v12|, v16
	s_cbranch_execz .LBB8_231
; %bb.190:                              ;   in Loop: Header=BB8_40 Depth=2
	global_load_b32 v20, v[9:10], off offset:-8
	v_mul_f32_e32 v16, v19, v19
	v_cmp_lt_f32_e64 s2, 0, v12
	v_cmp_lt_f32_e64 s3, v7, v15
	s_mov_b32 s4, exec_lo
	s_waitcnt vmcnt(0)
	v_fma_f32 v13, -v13, v20, v12
	s_delay_alu instid0(VALU_DEP_1) | instskip(NEXT) | instid1(VALU_DEP_1)
	v_fma_f32 v13, -v11, v16, v13
                                        ; implicit-def: $vgpr16
	v_cmpx_neq_f32_e32 0, v13
	s_xor_b32 s7, exec_lo, s4
	s_cbranch_execz .LBB8_196
; %bb.191:                              ;   in Loop: Header=BB8_40 Depth=2
	v_mul_f32_e32 v16, v11, v20
	s_delay_alu instid0(VALU_DEP_1) | instskip(SKIP_2) | instid1(VALU_DEP_3)
	v_mul_f32_e32 v18, v12, v16
	v_add_f32_e32 v19, v11, v20
	v_mul_f32_e32 v16, v17, v16
	v_mul_f32_e32 v20, -4.0, v18
	s_delay_alu instid0(VALU_DEP_2) | instskip(NEXT) | instid1(VALU_DEP_2)
	v_fma_f32 v19, v12, v19, -v16
	v_mul_f32_e64 v16, v20, |v13|
	s_delay_alu instid0(VALU_DEP_1) | instskip(NEXT) | instid1(VALU_DEP_1)
	v_fmac_f32_e32 v16, v19, v19
	v_mul_f32_e64 v20, 0x4f800000, |v16|
	v_cmp_gt_f32_e64 vcc_lo, 0xf800000, |v16|
	s_delay_alu instid0(VALU_DEP_1) | instskip(NEXT) | instid1(VALU_DEP_1)
	v_cndmask_b32_e64 v16, |v16|, v20, vcc_lo
	v_sqrt_f32_e32 v20, v16
	s_waitcnt_depctr 0xfff
	v_add_nc_u32_e32 v21, -1, v20
	v_add_nc_u32_e32 v22, 1, v20
	s_delay_alu instid0(VALU_DEP_2) | instskip(NEXT) | instid1(VALU_DEP_2)
	v_fma_f32 v23, -v21, v20, v16
	v_fma_f32 v32, -v22, v20, v16
	s_delay_alu instid0(VALU_DEP_2) | instskip(NEXT) | instid1(VALU_DEP_1)
	v_cmp_ge_f32_e64 s4, 0, v23
	v_cndmask_b32_e64 v20, v20, v21, s4
	s_delay_alu instid0(VALU_DEP_3) | instskip(NEXT) | instid1(VALU_DEP_1)
	v_cmp_lt_f32_e64 s4, 0, v32
	v_cndmask_b32_e64 v20, v20, v22, s4
	s_mov_b32 s4, exec_lo
	s_delay_alu instid0(VALU_DEP_1) | instskip(NEXT) | instid1(VALU_DEP_1)
	v_mul_f32_e32 v21, 0x37800000, v20
	v_cndmask_b32_e32 v20, v20, v21, vcc_lo
	v_cmp_class_f32_e64 vcc_lo, v16, 0x260
	s_delay_alu instid0(VALU_DEP_2)
	v_cndmask_b32_e32 v20, v20, v16, vcc_lo
                                        ; implicit-def: $vgpr16
	v_cmpx_le_f32_e32 0, v19
	s_xor_b32 s4, exec_lo, s4
	s_cbranch_execz .LBB8_193
; %bb.192:                              ;   in Loop: Header=BB8_40 Depth=2
	s_delay_alu instid0(VALU_DEP_2) | instskip(SKIP_1) | instid1(VALU_DEP_1)
	v_add_f32_e32 v16, v19, v20
	v_add_f32_e64 v13, |v13|, |v13|
	v_div_scale_f32 v18, null, v13, v13, v16
	s_delay_alu instid0(VALU_DEP_1) | instskip(SKIP_2) | instid1(VALU_DEP_1)
	v_rcp_f32_e32 v19, v18
	s_waitcnt_depctr 0xfff
	v_fma_f32 v20, -v18, v19, 1.0
	v_fmac_f32_e32 v19, v20, v19
	v_div_scale_f32 v20, vcc_lo, v16, v13, v16
	s_delay_alu instid0(VALU_DEP_1) | instskip(NEXT) | instid1(VALU_DEP_1)
	v_mul_f32_e32 v21, v20, v19
	v_fma_f32 v22, -v18, v21, v20
	s_delay_alu instid0(VALU_DEP_1) | instskip(NEXT) | instid1(VALU_DEP_1)
	v_fmac_f32_e32 v21, v22, v19
	v_fma_f32 v18, -v18, v21, v20
                                        ; implicit-def: $vgpr20
	s_delay_alu instid0(VALU_DEP_1) | instskip(NEXT) | instid1(VALU_DEP_1)
	v_div_fmas_f32 v18, v18, v19, v21
                                        ; implicit-def: $vgpr19
	v_div_fixup_f32 v16, v18, v13, v16
                                        ; implicit-def: $vgpr18
.LBB8_193:                              ;   in Loop: Header=BB8_40 Depth=2
	s_and_not1_saveexec_b32 s4, s4
	s_cbranch_execz .LBB8_195
; %bb.194:                              ;   in Loop: Header=BB8_40 Depth=2
	v_dual_add_f32 v13, v18, v18 :: v_dual_sub_f32 v16, v19, v20
	s_delay_alu instid0(VALU_DEP_1) | instskip(NEXT) | instid1(VALU_DEP_1)
	v_div_scale_f32 v18, null, v16, v16, v13
	v_rcp_f32_e32 v19, v18
	s_waitcnt_depctr 0xfff
	v_fma_f32 v20, -v18, v19, 1.0
	s_delay_alu instid0(VALU_DEP_1) | instskip(SKIP_1) | instid1(VALU_DEP_1)
	v_fmac_f32_e32 v19, v20, v19
	v_div_scale_f32 v20, vcc_lo, v13, v16, v13
	v_mul_f32_e32 v21, v20, v19
	s_delay_alu instid0(VALU_DEP_1) | instskip(NEXT) | instid1(VALU_DEP_1)
	v_fma_f32 v22, -v18, v21, v20
	v_fmac_f32_e32 v21, v22, v19
	s_delay_alu instid0(VALU_DEP_1) | instskip(NEXT) | instid1(VALU_DEP_1)
	v_fma_f32 v18, -v18, v21, v20
	v_div_fmas_f32 v18, v18, v19, v21
	s_delay_alu instid0(VALU_DEP_1)
	v_div_fixup_f32 v16, v18, v16, v13
.LBB8_195:                              ;   in Loop: Header=BB8_40 Depth=2
	s_or_b32 exec_lo, exec_lo, s4
.LBB8_196:                              ;   in Loop: Header=BB8_40 Depth=2
	s_or_saveexec_b32 s4, s7
	s_and_b32 vcc_lo, s3, s2
	v_cndmask_b32_e32 v13, v15, v7, vcc_lo
	s_xor_b32 exec_lo, exec_lo, s4
; %bb.197:                              ;   in Loop: Header=BB8_40 Depth=2
	s_delay_alu instid0(VALU_DEP_1)
	v_sub_f32_e32 v16, v13, v7
; %bb.198:                              ;   in Loop: Header=BB8_40 Depth=2
	s_or_b32 exec_lo, exec_lo, s4
	s_delay_alu instid0(VALU_DEP_1) | instskip(SKIP_1) | instid1(VALU_DEP_1)
	v_mul_f32_e32 v15, v12, v16
	s_mov_b32 s2, exec_lo
	v_cmpx_lt_f32_e32 0, v15
; %bb.199:                              ;   in Loop: Header=BB8_40 Depth=2
	v_div_scale_f32 v15, null, v17, v17, -v12
	s_delay_alu instid0(VALU_DEP_1) | instskip(SKIP_2) | instid1(VALU_DEP_1)
	v_rcp_f32_e32 v16, v15
	s_waitcnt_depctr 0xfff
	v_fma_f32 v18, -v15, v16, 1.0
	v_fmac_f32_e32 v16, v18, v16
	v_div_scale_f32 v18, vcc_lo, -v12, v17, -v12
	s_delay_alu instid0(VALU_DEP_1) | instskip(NEXT) | instid1(VALU_DEP_1)
	v_mul_f32_e32 v19, v18, v16
	v_fma_f32 v20, -v15, v19, v18
	s_delay_alu instid0(VALU_DEP_1) | instskip(NEXT) | instid1(VALU_DEP_1)
	v_fmac_f32_e32 v19, v20, v16
	v_fma_f32 v15, -v15, v19, v18
	s_delay_alu instid0(VALU_DEP_1) | instskip(NEXT) | instid1(VALU_DEP_1)
	v_div_fmas_f32 v15, v15, v16, v19
	v_div_fixup_f32 v16, v15, v17, -v12
; %bb.200:                              ;   in Loop: Header=BB8_40 Depth=2
	s_or_b32 exec_lo, exec_lo, s2
	v_cmp_lt_f32_e32 vcc_lo, v14, v7
	s_delay_alu instid0(VALU_DEP_2) | instskip(SKIP_2) | instid1(VALU_DEP_2)
	v_add_f32_e32 v17, v7, v16
	v_cndmask_b32_e32 v15, v14, v7, vcc_lo
	v_cmp_nge_f32_e32 vcc_lo, 0, v12
	v_cndmask_b32_e32 v14, v15, v14, vcc_lo
	s_delay_alu instid0(VALU_DEP_4) | instskip(NEXT) | instid1(VALU_DEP_2)
	v_cmp_gt_f32_e32 vcc_lo, v17, v13
	v_cmp_lt_f32_e64 s2, v17, v14
	s_delay_alu instid0(VALU_DEP_1) | instskip(NEXT) | instid1(SALU_CYCLE_1)
	s_or_b32 s3, vcc_lo, s2
	s_and_saveexec_b32 s2, s3
	s_cbranch_execz .LBB8_206
; %bb.201:                              ;   in Loop: Header=BB8_40 Depth=2
	s_mov_b32 s3, exec_lo
                                        ; implicit-def: $vgpr16
	v_cmpx_ngt_f32_e32 0, v12
	s_xor_b32 s3, exec_lo, s3
; %bb.202:                              ;   in Loop: Header=BB8_40 Depth=2
	v_sub_f32_e32 v12, v14, v7
	s_delay_alu instid0(VALU_DEP_1)
	v_mul_f32_e32 v16, 0.5, v12
; %bb.203:                              ;   in Loop: Header=BB8_40 Depth=2
	s_and_not1_saveexec_b32 s3, s3
; %bb.204:                              ;   in Loop: Header=BB8_40 Depth=2
	v_sub_f32_e32 v12, v13, v7
	s_delay_alu instid0(VALU_DEP_1)
	v_mul_f32_e32 v16, 0.5, v12
; %bb.205:                              ;   in Loop: Header=BB8_40 Depth=2
	s_or_b32 exec_lo, exec_lo, s3
.LBB8_206:                              ;   in Loop: Header=BB8_40 Depth=2
	s_delay_alu instid0(SALU_CYCLE_1)
	s_or_b32 exec_lo, exec_lo, s2
	v_dual_mov_b32 v15, 0 :: v_dual_mov_b32 v18, 0
	v_mov_b32_e32 v17, 0
	s_and_not1_b32 vcc_lo, exec_lo, s29
	s_cbranch_vccnz .LBB8_210
; %bb.207:                              ;   in Loop: Header=BB8_40 Depth=2
	v_dual_mov_b32 v15, 0 :: v_dual_mov_b32 v12, v6
	v_dual_mov_b32 v11, v5 :: v_dual_mov_b32 v18, 0
	v_mov_b32_e32 v17, 0
	s_mov_b64 s[2:3], s[34:35]
	s_mov_b32 s4, s36
	s_set_inst_prefetch_distance 0x1
	.p2align	6
.LBB8_208:                              ;   Parent Loop BB8_4 Depth=1
                                        ;     Parent Loop BB8_40 Depth=2
                                        ; =>    This Inner Loop Header: Depth=3
	global_load_b32 v19, v[11:12], off
	s_add_i32 s4, s4, -1
	s_waitcnt vmcnt(0)
	v_sub_f32_e32 v19, v19, v16
	global_store_b32 v[11:12], v19, off
	global_load_b32 v20, v2, s[2:3]
	s_add_u32 s2, s2, 4
	s_addc_u32 s3, s3, 0
	s_cmp_eq_u32 s4, 0
	s_waitcnt vmcnt(0)
	v_div_scale_f32 v21, null, v19, v19, v20
	v_div_scale_f32 v32, vcc_lo, v20, v19, v20
	s_delay_alu instid0(VALU_DEP_2) | instskip(SKIP_2) | instid1(VALU_DEP_1)
	v_rcp_f32_e32 v22, v21
	s_waitcnt_depctr 0xfff
	v_fma_f32 v23, -v21, v22, 1.0
	v_fmac_f32_e32 v22, v23, v22
	s_delay_alu instid0(VALU_DEP_1) | instskip(NEXT) | instid1(VALU_DEP_1)
	v_mul_f32_e32 v23, v32, v22
	v_fma_f32 v33, -v21, v23, v32
	s_delay_alu instid0(VALU_DEP_1) | instskip(NEXT) | instid1(VALU_DEP_1)
	v_fmac_f32_e32 v23, v33, v22
	v_fma_f32 v21, -v21, v23, v32
	s_delay_alu instid0(VALU_DEP_1) | instskip(SKIP_2) | instid1(VALU_DEP_3)
	v_div_fmas_f32 v21, v21, v22, v23
	v_add_co_u32 v11, vcc_lo, v11, 4
	v_add_co_ci_u32_e32 v12, vcc_lo, 0, v12, vcc_lo
	v_div_fixup_f32 v19, v21, v19, v20
	s_delay_alu instid0(VALU_DEP_1) | instskip(SKIP_1) | instid1(VALU_DEP_2)
	v_fmac_f32_e32 v18, v20, v19
	v_fmac_f32_e32 v15, v19, v19
	v_add_f32_e32 v17, v17, v18
	s_cbranch_scc0 .LBB8_208
; %bb.209:                              ;   in Loop: Header=BB8_40 Depth=2
	s_set_inst_prefetch_distance 0x2
	global_load_b32 v11, v[9:10], off offset:-4
.LBB8_210:                              ;   in Loop: Header=BB8_40 Depth=2
	s_waitcnt vmcnt(0)
	v_sub_f32_e32 v11, v11, v16
	v_add_f32_e32 v7, v7, v16
	s_mov_b32 s4, exec_lo
	global_store_b32 v[9:10], v11, off offset:-4
	global_load_b32 v12, v2, s[40:41] offset:-4
	s_waitcnt vmcnt(0)
	v_div_scale_f32 v19, null, v11, v11, v12
	s_delay_alu instid0(VALU_DEP_1) | instskip(SKIP_2) | instid1(VALU_DEP_1)
	v_rcp_f32_e32 v20, v19
	s_waitcnt_depctr 0xfff
	v_fma_f32 v21, -v19, v20, 1.0
	v_fmac_f32_e32 v20, v21, v20
	v_div_scale_f32 v21, vcc_lo, v12, v11, v12
	s_delay_alu instid0(VALU_DEP_1) | instskip(NEXT) | instid1(VALU_DEP_1)
	v_mul_f32_e32 v22, v21, v20
	v_fma_f32 v23, -v19, v22, v21
	s_delay_alu instid0(VALU_DEP_1) | instskip(NEXT) | instid1(VALU_DEP_1)
	v_fmac_f32_e32 v22, v23, v20
	v_fma_f32 v19, -v19, v22, v21
	s_delay_alu instid0(VALU_DEP_1) | instskip(NEXT) | instid1(VALU_DEP_1)
	v_div_fmas_f32 v19, v19, v20, v22
	v_div_fixup_f32 v19, v19, v11, v12
	s_delay_alu instid0(VALU_DEP_1) | instskip(SKIP_1) | instid1(VALU_DEP_2)
	v_fma_f32 v12, v12, v19, 0
	v_fma_f32 v16, v19, v19, v15
	v_add_f32_e32 v20, v18, v12
	v_add_f32_e32 v18, v30, v18
	v_add_f32_e64 v17, |v17|, v12
	s_delay_alu instid0(VALU_DEP_3) | instskip(NEXT) | instid1(VALU_DEP_1)
	v_mul_f32_e32 v20, 0xc1000000, v20
	v_fma_f32 v16, |v7|, v16, v20
	s_delay_alu instid0(VALU_DEP_1) | instskip(SKIP_1) | instid1(VALU_DEP_2)
	v_sub_f32_e32 v16, v16, v12
	v_add_f32_e32 v12, v18, v12
	v_add_f32_e32 v16, v30, v16
	s_delay_alu instid0(VALU_DEP_1) | instskip(NEXT) | instid1(VALU_DEP_1)
	v_add_f32_e32 v16, v17, v16
	v_mul_f32_e32 v16, s45, v16
	s_delay_alu instid0(VALU_DEP_1)
	v_cmpx_nle_f32_e64 |v12|, v16
	s_cbranch_execz .LBB8_230
; %bb.211:                              ;   in Loop: Header=BB8_40 Depth=2
	v_mul_f32_e32 v16, v19, v19
	s_mov_b32 s8, 1
	s_mov_b32 s7, 0
	s_branch .LBB8_213
.LBB8_212:                              ;   in Loop: Header=BB8_213 Depth=3
	s_waitcnt vmcnt(0)
	v_sub_f32_e32 v11, v11, v16
	v_add_f32_e32 v7, v7, v16
	s_add_i32 s2, s8, 1
	s_cmp_gt_u32 s8, 48
	s_mov_b32 s8, s2
	global_store_b32 v[9:10], v11, off offset:-4
	global_load_b32 v12, v2, s[40:41] offset:-4
	s_cselect_b32 s3, -1, 0
	s_waitcnt vmcnt(0)
	v_div_scale_f32 v19, null, v11, v11, v12
	s_delay_alu instid0(VALU_DEP_1) | instskip(SKIP_2) | instid1(VALU_DEP_1)
	v_rcp_f32_e32 v20, v19
	s_waitcnt_depctr 0xfff
	v_fma_f32 v21, -v19, v20, 1.0
	v_fmac_f32_e32 v20, v21, v20
	v_div_scale_f32 v21, vcc_lo, v12, v11, v12
	s_delay_alu instid0(VALU_DEP_1) | instskip(NEXT) | instid1(VALU_DEP_1)
	v_mul_f32_e32 v22, v21, v20
	v_fma_f32 v23, -v19, v22, v21
	s_delay_alu instid0(VALU_DEP_1) | instskip(NEXT) | instid1(VALU_DEP_1)
	v_fmac_f32_e32 v22, v23, v20
	v_fma_f32 v19, -v19, v22, v21
	s_delay_alu instid0(VALU_DEP_1) | instskip(NEXT) | instid1(VALU_DEP_1)
	v_div_fmas_f32 v19, v19, v20, v22
	v_div_fixup_f32 v19, v19, v11, v12
	s_delay_alu instid0(VALU_DEP_1) | instskip(SKIP_1) | instid1(VALU_DEP_2)
	v_fma_f32 v12, v12, v19, 0
	v_fma_f32 v16, v19, v19, v15
	v_add_f32_e32 v20, v18, v12
	v_add_f32_e32 v18, v30, v18
	v_add_f32_e64 v17, |v17|, v12
	s_delay_alu instid0(VALU_DEP_3) | instskip(NEXT) | instid1(VALU_DEP_1)
	v_mul_f32_e32 v20, 0xc1000000, v20
	v_fma_f32 v16, |v7|, v16, v20
	s_delay_alu instid0(VALU_DEP_1) | instskip(SKIP_1) | instid1(VALU_DEP_2)
	v_sub_f32_e32 v16, v16, v12
	v_add_f32_e32 v12, v18, v12
	v_add_f32_e32 v16, v30, v16
	s_delay_alu instid0(VALU_DEP_1) | instskip(NEXT) | instid1(VALU_DEP_3)
	v_add_f32_e32 v16, v17, v16
	v_and_b32_e32 v17, 0x7fffffff, v12
	s_delay_alu instid0(VALU_DEP_2) | instskip(NEXT) | instid1(VALU_DEP_1)
	v_mul_f32_e32 v16, s45, v16
	v_cmp_le_f32_e32 vcc_lo, v17, v16
	v_mul_f32_e32 v16, v19, v19
	s_or_b32 s3, s3, vcc_lo
	s_delay_alu instid0(SALU_CYCLE_1) | instskip(NEXT) | instid1(SALU_CYCLE_1)
	s_and_b32 s3, exec_lo, s3
	s_or_b32 s7, s3, s7
	s_delay_alu instid0(SALU_CYCLE_1)
	s_and_not1_b32 exec_lo, exec_lo, s7
	s_cbranch_execz .LBB8_229
.LBB8_213:                              ;   Parent Loop BB8_4 Depth=1
                                        ;     Parent Loop BB8_40 Depth=2
                                        ; =>    This Loop Header: Depth=3
                                        ;         Child Loop BB8_227 Depth 4
	global_load_b32 v18, v[9:10], off offset:-8
	s_waitcnt vmcnt(0)
	v_mul_f32_e32 v20, v11, v18
	v_fma_f32 v19, -v15, v18, v12
	v_dual_add_f32 v15, v16, v15 :: v_dual_add_f32 v18, v11, v18
	s_delay_alu instid0(VALU_DEP_3) | instskip(NEXT) | instid1(VALU_DEP_3)
	v_mul_f32_e32 v17, v12, v20
	v_fma_f32 v19, -v11, v16, v19
	s_delay_alu instid0(VALU_DEP_3) | instskip(NEXT) | instid1(VALU_DEP_3)
	v_mul_f32_e32 v16, v15, v20
	v_mul_f32_e32 v20, -4.0, v17
	s_delay_alu instid0(VALU_DEP_2) | instskip(NEXT) | instid1(VALU_DEP_2)
	v_fma_f32 v18, v12, v18, -v16
	v_mul_f32_e32 v16, v20, v19
	s_delay_alu instid0(VALU_DEP_1) | instskip(NEXT) | instid1(VALU_DEP_1)
	v_fmac_f32_e32 v16, v18, v18
	v_mul_f32_e64 v20, 0x4f800000, |v16|
	v_cmp_gt_f32_e64 vcc_lo, 0xf800000, |v16|
	s_delay_alu instid0(VALU_DEP_1) | instskip(NEXT) | instid1(VALU_DEP_1)
	v_cndmask_b32_e64 v16, |v16|, v20, vcc_lo
	v_sqrt_f32_e32 v20, v16
	s_waitcnt_depctr 0xfff
	v_add_nc_u32_e32 v21, -1, v20
	v_add_nc_u32_e32 v22, 1, v20
	s_delay_alu instid0(VALU_DEP_2) | instskip(NEXT) | instid1(VALU_DEP_2)
	v_fma_f32 v23, -v21, v20, v16
	v_fma_f32 v32, -v22, v20, v16
	s_delay_alu instid0(VALU_DEP_2) | instskip(NEXT) | instid1(VALU_DEP_1)
	v_cmp_ge_f32_e64 s2, 0, v23
	v_cndmask_b32_e64 v20, v20, v21, s2
	s_delay_alu instid0(VALU_DEP_3) | instskip(NEXT) | instid1(VALU_DEP_1)
	v_cmp_lt_f32_e64 s2, 0, v32
	v_cndmask_b32_e64 v20, v20, v22, s2
	s_mov_b32 s2, exec_lo
	s_delay_alu instid0(VALU_DEP_1) | instskip(NEXT) | instid1(VALU_DEP_1)
	v_mul_f32_e32 v21, 0x37800000, v20
	v_cndmask_b32_e32 v20, v20, v21, vcc_lo
	v_cmp_class_f32_e64 vcc_lo, v16, 0x260
	s_delay_alu instid0(VALU_DEP_2)
	v_cndmask_b32_e32 v20, v20, v16, vcc_lo
                                        ; implicit-def: $vgpr16
	v_cmpx_le_f32_e32 0, v18
	s_xor_b32 s2, exec_lo, s2
	s_cbranch_execz .LBB8_215
; %bb.214:                              ;   in Loop: Header=BB8_213 Depth=3
	s_delay_alu instid0(VALU_DEP_2) | instskip(NEXT) | instid1(VALU_DEP_1)
	v_dual_add_f32 v16, v18, v20 :: v_dual_add_f32 v17, v19, v19
	v_div_scale_f32 v18, null, v17, v17, v16
	s_delay_alu instid0(VALU_DEP_1) | instskip(SKIP_2) | instid1(VALU_DEP_1)
	v_rcp_f32_e32 v19, v18
	s_waitcnt_depctr 0xfff
	v_fma_f32 v20, -v18, v19, 1.0
	v_fmac_f32_e32 v19, v20, v19
	v_div_scale_f32 v20, vcc_lo, v16, v17, v16
	s_delay_alu instid0(VALU_DEP_1) | instskip(NEXT) | instid1(VALU_DEP_1)
	v_mul_f32_e32 v21, v20, v19
	v_fma_f32 v22, -v18, v21, v20
	s_delay_alu instid0(VALU_DEP_1) | instskip(NEXT) | instid1(VALU_DEP_1)
	v_fmac_f32_e32 v21, v22, v19
	v_fma_f32 v18, -v18, v21, v20
                                        ; implicit-def: $vgpr20
	s_delay_alu instid0(VALU_DEP_1) | instskip(NEXT) | instid1(VALU_DEP_1)
	v_div_fmas_f32 v18, v18, v19, v21
	v_div_fixup_f32 v16, v18, v17, v16
                                        ; implicit-def: $vgpr17
                                        ; implicit-def: $vgpr18
.LBB8_215:                              ;   in Loop: Header=BB8_213 Depth=3
	s_and_not1_saveexec_b32 s2, s2
	s_cbranch_execz .LBB8_217
; %bb.216:                              ;   in Loop: Header=BB8_213 Depth=3
	v_dual_add_f32 v16, v17, v17 :: v_dual_sub_f32 v17, v18, v20
	s_delay_alu instid0(VALU_DEP_1) | instskip(NEXT) | instid1(VALU_DEP_1)
	v_div_scale_f32 v18, null, v17, v17, v16
	v_rcp_f32_e32 v19, v18
	s_waitcnt_depctr 0xfff
	v_fma_f32 v20, -v18, v19, 1.0
	s_delay_alu instid0(VALU_DEP_1) | instskip(SKIP_1) | instid1(VALU_DEP_1)
	v_fmac_f32_e32 v19, v20, v19
	v_div_scale_f32 v20, vcc_lo, v16, v17, v16
	v_mul_f32_e32 v21, v20, v19
	s_delay_alu instid0(VALU_DEP_1) | instskip(NEXT) | instid1(VALU_DEP_1)
	v_fma_f32 v22, -v18, v21, v20
	v_fmac_f32_e32 v21, v22, v19
	s_delay_alu instid0(VALU_DEP_1) | instskip(NEXT) | instid1(VALU_DEP_1)
	v_fma_f32 v18, -v18, v21, v20
	v_div_fmas_f32 v18, v18, v19, v21
	s_delay_alu instid0(VALU_DEP_1)
	v_div_fixup_f32 v16, v18, v17, v16
.LBB8_217:                              ;   in Loop: Header=BB8_213 Depth=3
	s_or_b32 exec_lo, exec_lo, s2
	s_delay_alu instid0(VALU_DEP_1) | instskip(SKIP_1) | instid1(VALU_DEP_1)
	v_mul_f32_e32 v17, v12, v16
	s_mov_b32 s2, exec_lo
	v_cmpx_lt_f32_e32 0, v17
; %bb.218:                              ;   in Loop: Header=BB8_213 Depth=3
	v_div_scale_f32 v16, null, v15, v15, -v12
	s_delay_alu instid0(VALU_DEP_1) | instskip(SKIP_2) | instid1(VALU_DEP_1)
	v_rcp_f32_e32 v17, v16
	s_waitcnt_depctr 0xfff
	v_fma_f32 v18, -v16, v17, 1.0
	v_fmac_f32_e32 v17, v18, v17
	v_div_scale_f32 v18, vcc_lo, -v12, v15, -v12
	s_delay_alu instid0(VALU_DEP_1) | instskip(NEXT) | instid1(VALU_DEP_1)
	v_mul_f32_e32 v19, v18, v17
	v_fma_f32 v20, -v16, v19, v18
	s_delay_alu instid0(VALU_DEP_1) | instskip(NEXT) | instid1(VALU_DEP_1)
	v_fmac_f32_e32 v19, v20, v17
	v_fma_f32 v16, -v16, v19, v18
	s_delay_alu instid0(VALU_DEP_1) | instskip(NEXT) | instid1(VALU_DEP_1)
	v_div_fmas_f32 v16, v16, v17, v19
	v_div_fixup_f32 v16, v16, v15, -v12
; %bb.219:                              ;   in Loop: Header=BB8_213 Depth=3
	s_or_b32 exec_lo, exec_lo, s2
	v_cmp_lt_f32_e32 vcc_lo, 0, v12
	v_cmp_lt_f32_e64 s2, v7, v13
	v_cmp_lt_f32_e64 s3, v14, v7
	v_add_f32_e32 v17, v7, v16
	s_delay_alu instid0(VALU_DEP_3) | instskip(NEXT) | instid1(VALU_DEP_2)
	s_and_b32 vcc_lo, vcc_lo, s2
	v_cndmask_b32_e64 v15, v14, v7, s3
	v_cndmask_b32_e32 v13, v13, v7, vcc_lo
	v_cmp_nge_f32_e32 vcc_lo, 0, v12
	s_delay_alu instid0(VALU_DEP_3) | instskip(NEXT) | instid1(VALU_DEP_3)
	v_cndmask_b32_e32 v14, v15, v14, vcc_lo
	v_cmp_gt_f32_e32 vcc_lo, v17, v13
	s_delay_alu instid0(VALU_DEP_2) | instskip(NEXT) | instid1(VALU_DEP_1)
	v_cmp_lt_f32_e64 s2, v17, v14
	s_or_b32 s3, vcc_lo, s2
	s_delay_alu instid0(SALU_CYCLE_1)
	s_and_saveexec_b32 s2, s3
	s_cbranch_execz .LBB8_225
; %bb.220:                              ;   in Loop: Header=BB8_213 Depth=3
	s_mov_b32 s3, exec_lo
                                        ; implicit-def: $vgpr16
	v_cmpx_ngt_f32_e32 0, v12
	s_xor_b32 s3, exec_lo, s3
; %bb.221:                              ;   in Loop: Header=BB8_213 Depth=3
	v_sub_f32_e32 v12, v14, v7
	s_delay_alu instid0(VALU_DEP_1)
	v_mul_f32_e32 v16, 0.5, v12
; %bb.222:                              ;   in Loop: Header=BB8_213 Depth=3
	s_and_not1_saveexec_b32 s3, s3
; %bb.223:                              ;   in Loop: Header=BB8_213 Depth=3
	v_sub_f32_e32 v12, v13, v7
	s_delay_alu instid0(VALU_DEP_1)
	v_mul_f32_e32 v16, 0.5, v12
; %bb.224:                              ;   in Loop: Header=BB8_213 Depth=3
	s_or_b32 exec_lo, exec_lo, s3
.LBB8_225:                              ;   in Loop: Header=BB8_213 Depth=3
	s_delay_alu instid0(SALU_CYCLE_1)
	s_or_b32 exec_lo, exec_lo, s2
	v_dual_mov_b32 v15, 0 :: v_dual_mov_b32 v18, 0
	v_mov_b32_e32 v17, 0
	s_and_not1_b32 vcc_lo, exec_lo, s29
	s_cbranch_vccnz .LBB8_212
; %bb.226:                              ;   in Loop: Header=BB8_213 Depth=3
	v_dual_mov_b32 v15, 0 :: v_dual_mov_b32 v12, v6
	v_dual_mov_b32 v11, v5 :: v_dual_mov_b32 v18, 0
	v_mov_b32_e32 v17, 0
	s_mov_b64 s[2:3], s[34:35]
	s_mov_b32 s9, s36
	s_set_inst_prefetch_distance 0x1
	.p2align	6
.LBB8_227:                              ;   Parent Loop BB8_4 Depth=1
                                        ;     Parent Loop BB8_40 Depth=2
                                        ;       Parent Loop BB8_213 Depth=3
                                        ; =>      This Inner Loop Header: Depth=4
	global_load_b32 v19, v[11:12], off
	s_add_i32 s9, s9, -1
	s_waitcnt vmcnt(0)
	v_sub_f32_e32 v19, v19, v16
	global_store_b32 v[11:12], v19, off
	global_load_b32 v20, v2, s[2:3]
	s_add_u32 s2, s2, 4
	s_addc_u32 s3, s3, 0
	s_cmp_eq_u32 s9, 0
	s_waitcnt vmcnt(0)
	v_div_scale_f32 v21, null, v19, v19, v20
	v_div_scale_f32 v32, vcc_lo, v20, v19, v20
	s_delay_alu instid0(VALU_DEP_2) | instskip(SKIP_2) | instid1(VALU_DEP_1)
	v_rcp_f32_e32 v22, v21
	s_waitcnt_depctr 0xfff
	v_fma_f32 v23, -v21, v22, 1.0
	v_fmac_f32_e32 v22, v23, v22
	s_delay_alu instid0(VALU_DEP_1) | instskip(NEXT) | instid1(VALU_DEP_1)
	v_mul_f32_e32 v23, v32, v22
	v_fma_f32 v33, -v21, v23, v32
	s_delay_alu instid0(VALU_DEP_1) | instskip(NEXT) | instid1(VALU_DEP_1)
	v_fmac_f32_e32 v23, v33, v22
	v_fma_f32 v21, -v21, v23, v32
	s_delay_alu instid0(VALU_DEP_1) | instskip(SKIP_2) | instid1(VALU_DEP_3)
	v_div_fmas_f32 v21, v21, v22, v23
	v_add_co_u32 v11, vcc_lo, v11, 4
	v_add_co_ci_u32_e32 v12, vcc_lo, 0, v12, vcc_lo
	v_div_fixup_f32 v19, v21, v19, v20
	s_delay_alu instid0(VALU_DEP_1) | instskip(SKIP_1) | instid1(VALU_DEP_2)
	v_fmac_f32_e32 v18, v20, v19
	v_fmac_f32_e32 v15, v19, v19
	v_add_f32_e32 v17, v17, v18
	s_cbranch_scc0 .LBB8_227
; %bb.228:                              ;   in Loop: Header=BB8_213 Depth=3
	s_set_inst_prefetch_distance 0x2
	global_load_b32 v11, v[9:10], off offset:-4
	s_branch .LBB8_212
.LBB8_229:                              ;   in Loop: Header=BB8_40 Depth=2
	s_or_b32 exec_lo, exec_lo, s7
.LBB8_230:                              ;   in Loop: Header=BB8_40 Depth=2
	s_delay_alu instid0(SALU_CYCLE_1)
	s_or_b32 exec_lo, exec_lo, s4
.LBB8_231:                              ;   in Loop: Header=BB8_40 Depth=2
	s_delay_alu instid0(SALU_CYCLE_1)
	s_or_b32 exec_lo, exec_lo, s6
	v_add_f32_e32 v34, v8, v7
	s_or_b32 exec_lo, exec_lo, s5
	global_store_b32 v[3:4], v34, off
	s_and_b32 exec_lo, exec_lo, s1
	s_cbranch_execz .LBB8_39
.LBB8_232:                              ;   in Loop: Header=BB8_40 Depth=2
	v_xor_b32_e32 v5, 0x80000000, v34
	global_store_b32 v[3:4], v5, off
	s_branch .LBB8_39
.LBB8_233:                              ;   in Loop: Header=BB8_4 Depth=1
	s_or_b32 exec_lo, exec_lo, s79
; %bb.234:                              ;   in Loop: Header=BB8_4 Depth=1
	s_waitcnt_vscnt null, 0x0
	s_barrier
	buffer_gl0_inv
	s_and_saveexec_b32 s8, s0
	s_cbranch_execz .LBB8_2
; %bb.235:                              ;   in Loop: Header=BB8_4 Depth=1
	s_add_u32 s2, s46, s30
	s_addc_u32 s3, s47, s31
	s_add_u32 s0, s54, s30
	s_addc_u32 s1, s55, s31
	s_add_u32 s9, s0, 8
	v_mov_b32_e32 v1, v0
	s_addc_u32 s29, s1, 0
	s_add_u32 s4, s76, 8
	s_addc_u32 s5, s77, 0
	s_mov_b32 s30, 0
	s_branch .LBB8_238
.LBB8_236:                              ;   in Loop: Header=BB8_238 Depth=2
	v_mov_b32_e32 v10, 1.0
.LBB8_237:                              ;   in Loop: Header=BB8_238 Depth=2
	s_delay_alu instid0(VALU_DEP_2) | instskip(NEXT) | instid1(VALU_DEP_3)
	v_add_co_u32 v3, vcc_lo, s34, v3
	v_add_co_ci_u32_e32 v4, vcc_lo, s35, v4, vcc_lo
	s_delay_alu instid0(VALU_DEP_3) | instskip(SKIP_4) | instid1(VALU_DEP_1)
	v_mul_f32_e64 v6, 0x4f800000, |v10|
	v_cmp_gt_f32_e64 vcc_lo, 0xf800000, |v10|
	v_add_nc_u32_e32 v1, s15, v1
	global_load_b32 v5, v[3:4], off
	v_cndmask_b32_e64 v6, |v10|, v6, vcc_lo
	v_sqrt_f32_e32 v7, v6
	s_waitcnt_depctr 0xfff
	v_add_nc_u32_e32 v8, -1, v7
	v_add_nc_u32_e32 v9, 1, v7
	s_delay_alu instid0(VALU_DEP_2) | instskip(NEXT) | instid1(VALU_DEP_2)
	v_fma_f32 v10, -v8, v7, v6
	v_fma_f32 v11, -v9, v7, v6
	s_delay_alu instid0(VALU_DEP_2) | instskip(NEXT) | instid1(VALU_DEP_1)
	v_cmp_ge_f32_e64 s0, 0, v10
	v_cndmask_b32_e64 v7, v7, v8, s0
	s_delay_alu instid0(VALU_DEP_3) | instskip(NEXT) | instid1(VALU_DEP_1)
	v_cmp_lt_f32_e64 s0, 0, v11
	v_cndmask_b32_e64 v7, v7, v9, s0
	s_delay_alu instid0(VALU_DEP_1) | instskip(NEXT) | instid1(VALU_DEP_1)
	v_mul_f32_e32 v8, 0x37800000, v7
	v_cndmask_b32_e32 v7, v7, v8, vcc_lo
	v_cmp_class_f32_e64 vcc_lo, v6, 0x260
	s_delay_alu instid0(VALU_DEP_2) | instskip(SKIP_1) | instid1(VALU_DEP_3)
	v_cndmask_b32_e32 v6, v7, v6, vcc_lo
	v_cmp_le_i32_e32 vcc_lo, s28, v1
	s_or_b32 s30, vcc_lo, s30
	s_waitcnt vmcnt(0)
	v_cmp_gt_f32_e64 s0, 0, v5
	s_delay_alu instid0(VALU_DEP_1)
	v_cndmask_b32_e64 v5, v6, -v6, s0
	global_store_b32 v[3:4], v5, off
	s_and_not1_b32 exec_lo, exec_lo, s30
	s_cbranch_execz .LBB8_2
.LBB8_238:                              ;   Parent Loop BB8_4 Depth=1
                                        ; =>  This Loop Header: Depth=2
                                        ;       Child Loop BB8_242 Depth 3
	v_lshlrev_b64 v[3:4], 2, v[1:2]
	s_and_not1_b32 vcc_lo, exec_lo, s73
	s_cbranch_vccnz .LBB8_236
; %bb.239:                              ;   in Loop: Header=BB8_238 Depth=2
	s_delay_alu instid0(VALU_DEP_1) | instskip(NEXT) | instid1(VALU_DEP_2)
	v_add_co_u32 v5, vcc_lo, s9, v3
	v_add_co_ci_u32_e32 v6, vcc_lo, s29, v4, vcc_lo
	v_dual_mov_b32 v10, 1.0 :: v_dual_mov_b32 v7, v1
	s_mov_b32 s31, 0
	s_mov_b64 s[0:1], s[2:3]
	s_mov_b64 s[6:7], s[4:5]
	s_branch .LBB8_242
.LBB8_240:                              ;   in Loop: Header=BB8_242 Depth=3
	s_or_b32 exec_lo, exec_lo, s36
	s_waitcnt vmcnt(0)
	s_delay_alu instid0(VALU_DEP_1)
	v_mul_f32_e32 v10, v10, v11
.LBB8_241:                              ;   in Loop: Header=BB8_242 Depth=3
	s_add_i32 s31, s31, 1
	s_add_u32 s6, s6, 4
	v_add_nc_u32_e32 v7, s22, v7
	s_addc_u32 s7, s7, 0
	s_add_u32 s0, s0, 4
	s_addc_u32 s1, s1, 0
	s_cmp_eq_u32 s72, s31
	s_cbranch_scc1 .LBB8_237
.LBB8_242:                              ;   Parent Loop BB8_4 Depth=1
                                        ;     Parent Loop BB8_238 Depth=2
                                        ; =>    This Inner Loop Header: Depth=3
	global_load_b32 v8, v2, s[6:7]
	s_waitcnt vmcnt(0)
	v_cmp_ne_u32_e32 vcc_lo, 1, v8
	s_cbranch_vccnz .LBB8_241
; %bb.243:                              ;   in Loop: Header=BB8_242 Depth=3
	v_ashrrev_i32_e32 v8, 31, v7
	s_mov_b32 s36, exec_lo
	s_delay_alu instid0(VALU_DEP_1) | instskip(NEXT) | instid1(VALU_DEP_1)
	v_lshlrev_b64 v[8:9], 2, v[7:8]
	v_add_co_u32 v11, vcc_lo, s74, v8
	s_delay_alu instid0(VALU_DEP_2)
	v_add_co_ci_u32_e32 v12, vcc_lo, s75, v9, vcc_lo
	global_load_b32 v8, v[5:6], off
	global_load_b32 v11, v[11:12], off
	s_waitcnt vmcnt(1)
	v_cmpx_ne_u32_e64 s31, v8
	s_cbranch_execz .LBB8_240
; %bb.244:                              ;   in Loop: Header=BB8_242 Depth=3
	v_ashrrev_i32_e32 v9, 31, v8
	s_delay_alu instid0(VALU_DEP_1) | instskip(NEXT) | instid1(VALU_DEP_1)
	v_lshlrev_b64 v[8:9], 2, v[8:9]
	v_add_co_u32 v8, vcc_lo, s2, v8
	s_delay_alu instid0(VALU_DEP_2) | instskip(SKIP_4) | instid1(VALU_DEP_1)
	v_add_co_ci_u32_e32 v9, vcc_lo, s3, v9, vcc_lo
	global_load_b32 v12, v2, s[0:1]
	global_load_b32 v8, v[8:9], off
	s_waitcnt vmcnt(0)
	v_sub_f32_e32 v8, v8, v12
	v_div_scale_f32 v9, null, v8, v8, v11
	s_delay_alu instid0(VALU_DEP_1) | instskip(SKIP_2) | instid1(VALU_DEP_1)
	v_rcp_f32_e32 v12, v9
	s_waitcnt_depctr 0xfff
	v_fma_f32 v13, -v9, v12, 1.0
	v_fmac_f32_e32 v12, v13, v12
	v_div_scale_f32 v13, vcc_lo, v11, v8, v11
	s_delay_alu instid0(VALU_DEP_1) | instskip(NEXT) | instid1(VALU_DEP_1)
	v_mul_f32_e32 v14, v13, v12
	v_fma_f32 v15, -v9, v14, v13
	s_delay_alu instid0(VALU_DEP_1) | instskip(NEXT) | instid1(VALU_DEP_1)
	v_fmac_f32_e32 v14, v15, v12
	v_fma_f32 v9, -v9, v14, v13
	s_delay_alu instid0(VALU_DEP_1) | instskip(NEXT) | instid1(VALU_DEP_1)
	v_div_fmas_f32 v9, v9, v12, v14
	v_div_fixup_f32 v11, v9, v8, v11
	s_branch .LBB8_240
.LBB8_245:
	s_nop 0
	s_sendmsg sendmsg(MSG_DEALLOC_VGPRS)
	s_endpgm
	.section	.rodata,"a",@progbits
	.p2align	6, 0x0
	.amdhsa_kernel _ZN9rocsolver6v33100L25stedcx_mergeValues_kernelIfEEviiPT_lS3_lS3_S3_PiS2_S2_S2_
		.amdhsa_group_segment_fixed_size 0
		.amdhsa_private_segment_fixed_size 0
		.amdhsa_kernarg_size 336
		.amdhsa_user_sgpr_count 13
		.amdhsa_user_sgpr_dispatch_ptr 0
		.amdhsa_user_sgpr_queue_ptr 0
		.amdhsa_user_sgpr_kernarg_segment_ptr 1
		.amdhsa_user_sgpr_dispatch_id 0
		.amdhsa_user_sgpr_private_segment_size 0
		.amdhsa_wavefront_size32 1
		.amdhsa_uses_dynamic_stack 0
		.amdhsa_enable_private_segment 0
		.amdhsa_system_sgpr_workgroup_id_x 1
		.amdhsa_system_sgpr_workgroup_id_y 1
		.amdhsa_system_sgpr_workgroup_id_z 1
		.amdhsa_system_sgpr_workgroup_info 0
		.amdhsa_system_vgpr_workitem_id 0
		.amdhsa_next_free_vgpr 50
		.amdhsa_next_free_sgpr 99
		.amdhsa_reserve_vcc 1
		.amdhsa_float_round_mode_32 0
		.amdhsa_float_round_mode_16_64 0
		.amdhsa_float_denorm_mode_32 3
		.amdhsa_float_denorm_mode_16_64 3
		.amdhsa_dx10_clamp 1
		.amdhsa_ieee_mode 1
		.amdhsa_fp16_overflow 0
		.amdhsa_workgroup_processor_mode 1
		.amdhsa_memory_ordered 1
		.amdhsa_forward_progress 0
		.amdhsa_shared_vgpr_count 0
		.amdhsa_exception_fp_ieee_invalid_op 0
		.amdhsa_exception_fp_denorm_src 0
		.amdhsa_exception_fp_ieee_div_zero 0
		.amdhsa_exception_fp_ieee_overflow 0
		.amdhsa_exception_fp_ieee_underflow 0
		.amdhsa_exception_fp_ieee_inexact 0
		.amdhsa_exception_int_div_zero 0
	.end_amdhsa_kernel
	.section	.text._ZN9rocsolver6v33100L25stedcx_mergeValues_kernelIfEEviiPT_lS3_lS3_S3_PiS2_S2_S2_,"axG",@progbits,_ZN9rocsolver6v33100L25stedcx_mergeValues_kernelIfEEviiPT_lS3_lS3_S3_PiS2_S2_S2_,comdat
.Lfunc_end8:
	.size	_ZN9rocsolver6v33100L25stedcx_mergeValues_kernelIfEEviiPT_lS3_lS3_S3_PiS2_S2_S2_, .Lfunc_end8-_ZN9rocsolver6v33100L25stedcx_mergeValues_kernelIfEEviiPT_lS3_lS3_S3_PiS2_S2_S2_
                                        ; -- End function
	.section	.AMDGPU.csdata,"",@progbits
; Kernel info:
; codeLenInByte = 15284
; NumSgprs: 101
; NumVgprs: 50
; ScratchSize: 0
; MemoryBound: 0
; FloatMode: 240
; IeeeMode: 1
; LDSByteSize: 0 bytes/workgroup (compile time only)
; SGPRBlocks: 12
; VGPRBlocks: 6
; NumSGPRsForWavesPerEU: 101
; NumVGPRsForWavesPerEU: 50
; Occupancy: 16
; WaveLimiterHint : 1
; COMPUTE_PGM_RSRC2:SCRATCH_EN: 0
; COMPUTE_PGM_RSRC2:USER_SGPR: 13
; COMPUTE_PGM_RSRC2:TRAP_HANDLER: 0
; COMPUTE_PGM_RSRC2:TGID_X_EN: 1
; COMPUTE_PGM_RSRC2:TGID_Y_EN: 1
; COMPUTE_PGM_RSRC2:TGID_Z_EN: 1
; COMPUTE_PGM_RSRC2:TIDIG_COMP_CNT: 0
	.section	.text._ZN9rocsolver6v33100L26stedcx_mergeVectors_kernelILb0EfEEviiPT0_lS3_lS3_iilS3_S3_Pi,"axG",@progbits,_ZN9rocsolver6v33100L26stedcx_mergeVectors_kernelILb0EfEEviiPT0_lS3_lS3_iilS3_S3_Pi,comdat
	.globl	_ZN9rocsolver6v33100L26stedcx_mergeVectors_kernelILb0EfEEviiPT0_lS3_lS3_iilS3_S3_Pi ; -- Begin function _ZN9rocsolver6v33100L26stedcx_mergeVectors_kernelILb0EfEEviiPT0_lS3_lS3_iilS3_S3_Pi
	.p2align	8
	.type	_ZN9rocsolver6v33100L26stedcx_mergeVectors_kernelILb0EfEEviiPT0_lS3_lS3_iilS3_S3_Pi,@function
_ZN9rocsolver6v33100L26stedcx_mergeVectors_kernelILb0EfEEviiPT0_lS3_lS3_iilS3_S3_Pi: ; @_ZN9rocsolver6v33100L26stedcx_mergeVectors_kernelILb0EfEEviiPT0_lS3_lS3_iilS3_S3_Pi
; %bb.0:
	s_clause 0x1
	s_load_b128 s[16:19], s[0:1], 0x28
	s_load_b256 s[4:11], s[0:1], 0x38
	s_waitcnt lgkmcnt(0)
	s_cmp_eq_u64 s[16:17], 0
	s_cbranch_scc1 .LBB9_2
; %bb.1:
	s_mul_i32 s2, s15, s5
	s_mul_hi_u32 s3, s15, s4
	s_ashr_i32 s5, s15, 31
	s_add_i32 s2, s3, s2
	s_mul_i32 s5, s5, s4
	s_delay_alu instid0(SALU_CYCLE_1)
	s_add_i32 s3, s2, s5
	s_mul_i32 s2, s15, s4
	s_ashr_i32 s5, s18, 31
	s_lshl_b64 s[2:3], s[2:3], 2
	s_mov_b32 s4, s18
	s_add_u32 s12, s16, s2
	s_addc_u32 s16, s17, s3
	s_lshl_b64 s[2:3], s[4:5], 2
	s_delay_alu instid0(SALU_CYCLE_1)
	s_add_u32 s2, s12, s2
	s_addc_u32 s3, s16, s3
	s_branch .LBB9_3
.LBB9_2:
                                        ; implicit-def: $sgpr2_sgpr3
.LBB9_3:
	s_load_b64 s[4:5], s[0:1], 0x0
	s_waitcnt lgkmcnt(0)
	s_mul_i32 s12, s5, 5
	s_mov_b32 s22, s5
	s_add_i32 s12, s12, 2
	s_delay_alu instid0(SALU_CYCLE_1) | instskip(NEXT) | instid1(SALU_CYCLE_1)
	s_mul_i32 s16, s12, s15
	s_ashr_i32 s17, s16, 31
	s_delay_alu instid0(SALU_CYCLE_1) | instskip(NEXT) | instid1(SALU_CYCLE_1)
	s_lshl_b64 s[20:21], s[16:17], 2
	s_add_u32 s12, s10, s20
	s_addc_u32 s18, s11, s21
	s_ashr_i32 s23, s5, 31
	s_delay_alu instid0(SALU_CYCLE_1) | instskip(NEXT) | instid1(SALU_CYCLE_1)
	s_lshl_b64 s[24:25], s[22:23], 2
	s_add_u32 s16, s12, s24
	s_addc_u32 s17, s18, s25
	s_load_b32 s30, s[16:17], 0x4
	s_waitcnt lgkmcnt(0)
	s_cmp_ge_i32 s14, s30
	s_cbranch_scc1 .LBB9_47
; %bb.4:
	s_load_b32 s48, s[0:1], 0x64
	s_add_u32 s31, s16, s24
	s_addc_u32 s33, s17, s25
	s_add_u32 s41, s31, s24
	s_mul_i32 s0, s5, s5
	s_addc_u32 s42, s33, s25
	s_lshl_b32 s15, s15, 1
	s_mov_b32 s1, 0
	s_mul_i32 s26, s15, s0
	s_mul_i32 s28, s15, s5
	s_ashr_i32 s27, s26, 31
	s_ashr_i32 s29, s28, 31
	s_lshl_b64 s[26:27], s[26:27], 2
                                        ; implicit-def: $vgpr8
	s_delay_alu instid0(SALU_CYCLE_1)
	s_add_u32 s34, s8, s26
	s_addc_u32 s35, s9, s27
	s_lshl_b32 s36, 2, s4
	s_not_b32 s37, s4
	s_ashr_i32 s38, s13, 31
	s_abs_i32 s40, s13
	s_waitcnt lgkmcnt(0)
	s_and_b32 s39, 0xffff, s48
	s_add_u32 s41, s41, 8
	s_addc_u32 s42, s42, 0
	v_cvt_f32_u32_e32 v2, s36
	s_add_u32 s15, s24, s20
	s_addc_u32 s24, s25, s21
	s_add_u32 s15, s15, s10
	s_addc_u32 s24, s24, s11
	s_add_u32 s43, s15, 8
	v_rcp_iflag_f32_e32 v5, v2
	s_addc_u32 s44, s24, 0
	s_lshl_b64 s[24:25], s[0:1], 2
	v_lshlrev_b32_e32 v4, 2, v0
	s_add_u32 s1, s26, s24
	s_addc_u32 s15, s27, s25
	s_add_u32 s45, s8, s1
	s_addc_u32 s46, s9, s15
	s_lshl_b64 s[8:9], s[28:29], 2
	s_lshl_b32 s47, s39, 2
	s_waitcnt_depctr 0xfff
	v_mul_f32_e32 v7, 0x4f7ffffe, v5
	s_add_u32 s1, s6, s8
	s_addc_u32 s8, s7, s9
	s_lshl_b64 s[6:7], s[22:23], 4
	v_add_co_u32 v2, s1, s1, v4
	s_delay_alu instid0(VALU_DEP_1)
	v_add_co_ci_u32_e64 v3, null, s8, 0, s1
	s_add_u32 s1, s6, s20
	s_addc_u32 s6, s7, s21
	s_add_u32 s1, s10, s1
	v_add_nc_u32_e32 v1, 0, v4
	s_addc_u32 s6, s11, s6
	v_add_co_u32 v4, s1, s1, v4
	s_delay_alu instid0(VALU_DEP_1) | instskip(SKIP_1) | instid1(VALU_DEP_3)
	v_add_co_ci_u32_e64 v6, null, s6, 0, s1
	v_cmp_eq_u32_e64 s0, 0, v0
	v_add_co_u32 v4, vcc_lo, v4, 8
	s_delay_alu instid0(VALU_DEP_3)
	v_add_co_ci_u32_e32 v5, vcc_lo, 0, v6, vcc_lo
	v_cvt_u32_f32_e32 v6, v7
	v_cmp_gt_u16_e64 s48, s48, 1
	v_mov_b32_e32 v7, 0
	s_sub_i32 s49, 0, s36
	s_branch .LBB9_6
.LBB9_5:                                ;   in Loop: Header=BB9_6 Depth=1
	s_add_i32 s14, s14, 8
	s_delay_alu instid0(SALU_CYCLE_1)
	s_cmp_ge_i32 s14, s30
	s_cbranch_scc1 .LBB9_47
.LBB9_6:                                ; =>This Loop Header: Depth=1
                                        ;     Child Loop BB9_14 Depth 2
                                        ;     Child Loop BB9_17 Depth 2
	;; [unrolled: 1-line block ×6, first 2 shown]
                                        ;       Child Loop BB9_35 Depth 3
                                        ;       Child Loop BB9_38 Depth 3
	s_ashr_i32 s15, s14, 31
	s_delay_alu instid0(SALU_CYCLE_1)
	s_lshl_b64 s[6:7], s[14:15], 2
	s_barrier
	s_add_u32 s6, s12, s6
	s_addc_u32 s7, s18, s7
	buffer_gl0_inv
	s_load_b64 s[6:7], s[6:7], 0x0
	s_mov_b32 s50, 0
	s_waitcnt lgkmcnt(0)
	s_sub_i32 s1, s7, s6
	s_delay_alu instid0(SALU_CYCLE_1)
	s_cmp_lt_i32 s1, 3
	s_cbranch_scc1 .LBB9_11
; %bb.7:                                ;   in Loop: Header=BB9_6 Depth=1
	s_cmp_lt_u32 s1, 5
	s_mov_b32 s50, 1
	s_cbranch_scc1 .LBB9_11
; %bb.8:                                ;   in Loop: Header=BB9_6 Depth=1
	s_cmp_lt_u32 s1, 33
	s_mov_b32 s50, 2
	s_cbranch_scc1 .LBB9_11
; %bb.9:                                ;   in Loop: Header=BB9_6 Depth=1
	s_cmpk_lt_u32 s1, 0xe9
	s_mov_b32 s50, 4
	s_cbranch_scc1 .LBB9_11
; %bb.10:                               ;   in Loop: Header=BB9_6 Depth=1
	s_cmpk_lt_u32 s1, 0x128
	s_cselect_b32 s7, 5, 7
	s_cmpk_lt_u32 s1, 0x79b
	s_cselect_b32 s50, s7, 8
.LBB9_11:                               ;   in Loop: Header=BB9_6 Depth=1
	s_delay_alu instid0(SALU_CYCLE_1) | instskip(SKIP_4) | instid1(SALU_CYCLE_1)
	s_lshl_b32 s7, 1, s50
	s_add_i32 s1, s1, -1
	v_cvt_f32_u32_e32 v9, s7
	s_sub_i32 s9, 0, s7
	s_ashr_i32 s51, s1, 31
	s_add_i32 s1, s1, s51
	s_delay_alu instid0(VALU_DEP_1) | instskip(SKIP_3) | instid1(VALU_DEP_1)
	v_rcp_iflag_f32_e32 v9, v9
	s_xor_b32 s52, s1, s51
	s_waitcnt_depctr 0xfff
	v_mul_f32_e32 v9, 0x4f7ffffe, v9
	v_cvt_u32_f32_e32 v9, v9
	s_delay_alu instid0(VALU_DEP_1) | instskip(NEXT) | instid1(VALU_DEP_1)
	v_readfirstlane_b32 s8, v9
	s_mul_i32 s9, s9, s8
	s_delay_alu instid0(SALU_CYCLE_1) | instskip(NEXT) | instid1(SALU_CYCLE_1)
	s_mul_hi_u32 s9, s8, s9
	s_add_i32 s8, s8, s9
	s_delay_alu instid0(SALU_CYCLE_1) | instskip(NEXT) | instid1(SALU_CYCLE_1)
	s_mul_hi_u32 s1, s52, s8
	s_mul_i32 s8, s1, s7
	s_add_i32 s9, s1, 1
	s_sub_i32 s8, s52, s8
	s_delay_alu instid0(SALU_CYCLE_1)
	s_sub_i32 s10, s8, s7
	s_cmp_ge_u32 s8, s7
	s_cselect_b32 s1, s9, s1
	s_cselect_b32 s8, s10, s8
	s_add_i32 s9, s1, 1
	s_cmp_ge_u32 s8, s7
	s_cselect_b32 s1, s9, s1
	s_delay_alu instid0(SALU_CYCLE_1) | instskip(NEXT) | instid1(SALU_CYCLE_1)
	s_xor_b32 s1, s1, s51
	s_sub_i32 s1, s1, s51
	s_delay_alu instid0(SALU_CYCLE_1) | instskip(NEXT) | instid1(SALU_CYCLE_1)
	s_add_i32 s1, s1, 1
	s_lshl_b32 s7, s1, s50
	s_delay_alu instid0(SALU_CYCLE_1) | instskip(SKIP_3) | instid1(SALU_CYCLE_1)
	s_cmp_ge_i32 s13, s7
	s_cselect_b32 s7, -1, 0
	s_cmp_le_i32 s50, s4
	s_cselect_b32 s8, -1, 0
	s_or_b32 s7, s8, s7
	s_delay_alu instid0(SALU_CYCLE_1)
	s_and_b32 vcc_lo, exec_lo, s7
	s_cbranch_vccnz .LBB9_5
; %bb.12:                               ;   in Loop: Header=BB9_6 Depth=1
	s_ashr_i32 s7, s6, 31
	s_delay_alu instid0(SALU_CYCLE_1) | instskip(NEXT) | instid1(SALU_CYCLE_1)
	s_lshl_b64 s[20:21], s[6:7], 2
	s_add_u32 s15, s16, s20
	s_addc_u32 s25, s17, s21
	s_add_u32 s26, s31, s20
	s_addc_u32 s27, s33, s21
	s_abs_i32 s6, s1
	s_delay_alu instid0(SALU_CYCLE_1) | instskip(SKIP_1) | instid1(VALU_DEP_1)
	v_cvt_f32_u32_e32 v9, s6
	s_sub_i32 s8, 0, s6
	v_rcp_iflag_f32_e32 v9, v9
	s_waitcnt_depctr 0xfff
	v_mul_f32_e32 v9, 0x4f7ffffe, v9
	s_delay_alu instid0(VALU_DEP_1) | instskip(NEXT) | instid1(VALU_DEP_1)
	v_cvt_u32_f32_e32 v9, v9
	v_readfirstlane_b32 s7, v9
	s_delay_alu instid0(VALU_DEP_1) | instskip(NEXT) | instid1(SALU_CYCLE_1)
	s_mul_i32 s8, s8, s7
	s_mul_hi_u32 s8, s7, s8
	s_delay_alu instid0(SALU_CYCLE_1)
	s_add_i32 s7, s7, s8
	s_ashr_i32 s8, s1, 31
	s_mul_hi_u32 s7, s40, s7
	s_xor_b32 s8, s38, s8
	s_mul_i32 s9, s7, s6
	s_add_i32 s10, s7, 1
	s_sub_i32 s9, s40, s9
	s_delay_alu instid0(SALU_CYCLE_1)
	s_sub_i32 s11, s9, s6
	s_cmp_ge_u32 s9, s6
	s_cselect_b32 s7, s10, s7
	s_cselect_b32 s9, s11, s9
	s_add_i32 s10, s7, 1
	s_cmp_ge_u32 s9, s6
	s_cselect_b32 s6, s10, s7
	v_readfirstlane_b32 s10, v6
	s_xor_b32 s6, s6, s8
	s_delay_alu instid0(SALU_CYCLE_1) | instskip(NEXT) | instid1(SALU_CYCLE_1)
	s_sub_i32 s8, s6, s8
	s_ashr_i32 s9, s8, 31
	s_delay_alu instid0(VALU_DEP_1)
	s_mul_i32 s11, s49, s10
	s_lshl_b64 s[22:23], s[8:9], 2
	s_mul_hi_u32 s11, s10, s11
	s_add_u32 s6, s26, s22
	s_addc_u32 s7, s27, s23
	s_add_i32 s24, s8, s9
	s_add_i32 s10, s10, s11
	s_xor_b32 s24, s24, s9
	s_delay_alu instid0(SALU_CYCLE_1) | instskip(NEXT) | instid1(SALU_CYCLE_1)
	s_mul_hi_u32 s10, s24, s10
	s_mul_i32 s10, s10, s36
	s_delay_alu instid0(SALU_CYCLE_1) | instskip(NEXT) | instid1(SALU_CYCLE_1)
	s_sub_i32 s10, s24, s10
	s_sub_i32 s11, s10, s36
	s_cmp_ge_u32 s10, s36
	s_cselect_b32 s10, s11, s10
	s_delay_alu instid0(SALU_CYCLE_1) | instskip(SKIP_2) | instid1(SALU_CYCLE_1)
	s_sub_i32 s11, s10, s36
	s_cmp_ge_u32 s10, s36
	s_cselect_b32 s10, s11, s10
	s_xor_b32 s10, s10, s9
	s_delay_alu instid0(SALU_CYCLE_1) | instskip(NEXT) | instid1(SALU_CYCLE_1)
	s_sub_i32 s24, s10, s9
	s_sub_i32 s10, s8, s24
	s_delay_alu instid0(SALU_CYCLE_1) | instskip(NEXT) | instid1(SALU_CYCLE_1)
	s_ashr_i32 s11, s10, 31
	s_lshl_b64 s[10:11], s[10:11], 2
	s_delay_alu instid0(SALU_CYCLE_1)
	s_add_u32 s26, s26, s10
	s_addc_u32 s27, s27, s11
	s_add_u32 s10, s15, s22
	s_addc_u32 s11, s25, s23
	s_cmp_lt_i32 s24, 1
	s_load_b32 s15, s[10:11], 0x8
	s_cbranch_scc1 .LBB9_15
; %bb.13:                               ;   in Loop: Header=BB9_6 Depth=1
	s_add_i32 s9, s24, 1
	s_add_u32 s53, s20, s22
	s_addc_u32 s54, s21, s23
	s_ashr_i32 s25, s24, 31
	s_delay_alu instid0(SALU_CYCLE_1) | instskip(NEXT) | instid1(SALU_CYCLE_1)
	s_lshl_b64 s[28:29], s[24:25], 2
	s_sub_u32 s25, s53, s28
	s_subb_u32 s29, s54, s29
	s_add_u32 s28, s43, s25
	s_addc_u32 s29, s44, s29
.LBB9_14:                               ;   Parent Loop BB9_6 Depth=1
                                        ; =>  This Inner Loop Header: Depth=2
	s_load_b32 s25, s[28:29], 0x0
	s_add_i32 s9, s9, -1
	s_waitcnt lgkmcnt(0)
	s_add_i32 s15, s25, s15
	s_add_u32 s28, s28, 4
	s_addc_u32 s29, s29, 0
	s_cmp_lt_u32 s9, 2
	s_cbranch_scc0 .LBB9_14
.LBB9_15:                               ;   in Loop: Header=BB9_6 Depth=1
	s_clause 0x1
	s_load_b32 s9, s[6:7], 0x8
	s_load_b32 s6, s[26:27], 0x8
	s_not_b32 s7, s24
	s_delay_alu instid0(SALU_CYCLE_1) | instskip(NEXT) | instid1(SALU_CYCLE_1)
	s_add_i32 s26, s36, s7
	s_cmp_lt_i32 s26, 1
	s_cbranch_scc1 .LBB9_18
; %bb.16:                               ;   in Loop: Header=BB9_6 Depth=1
	s_ashr_i32 s27, s26, 31
	s_delay_alu instid0(SALU_CYCLE_1) | instskip(NEXT) | instid1(SALU_CYCLE_1)
	s_lshl_b64 s[26:27], s[26:27], 2
	s_add_u32 s7, s20, s26
	s_addc_u32 s20, s21, s27
	s_add_u32 s7, s7, s22
	s_addc_u32 s21, s20, s23
	;; [unrolled: 2-line block ×3, first 2 shown]
	s_sub_i32 s7, s36, s24
.LBB9_17:                               ;   Parent Loop BB9_6 Depth=1
                                        ; =>  This Inner Loop Header: Depth=2
	s_load_b32 s22, s[20:21], 0x0
	s_waitcnt lgkmcnt(0)
	s_add_i32 s15, s22, s15
	s_add_u32 s20, s20, -4
	s_addc_u32 s21, s21, -1
	s_add_i32 s7, s7, -1
	s_delay_alu instid0(SALU_CYCLE_1)
	s_cmp_lt_u32 s7, 2
	s_cbranch_scc0 .LBB9_17
.LBB9_18:                               ;   in Loop: Header=BB9_6 Depth=1
	s_waitcnt lgkmcnt(0)
	s_ashr_i32 s7, s6, 31
	s_cmp_lt_i32 s15, 1
	s_cbranch_scc1 .LBB9_21
; %bb.19:                               ;   in Loop: Header=BB9_6 Depth=1
	s_lshl_b64 s[20:21], s[6:7], 2
	s_mov_b32 s22, 0
	s_add_u32 s20, s41, s20
	s_addc_u32 s21, s42, s21
	s_mov_b32 s23, s15
.LBB9_20:                               ;   Parent Loop BB9_6 Depth=1
                                        ; =>  This Inner Loop Header: Depth=2
	s_load_b32 s24, s[20:21], 0x0
	s_waitcnt lgkmcnt(0)
	s_cmp_eq_u32 s24, 1
	s_cselect_b32 s24, -1, 0
	s_delay_alu instid0(SALU_CYCLE_1)
	s_cmp_lg_u32 s24, 0
	s_addc_u32 s22, s22, 0
	s_add_i32 s23, s23, -1
	s_add_u32 s20, s20, 4
	s_addc_u32 s21, s21, 0
	s_cmp_eq_u32 s23, 0
	s_cbranch_scc0 .LBB9_20
	s_branch .LBB9_22
.LBB9_21:                               ;   in Loop: Header=BB9_6 Depth=1
	s_mov_b32 s22, 0
.LBB9_22:                               ;   in Loop: Header=BB9_6 Depth=1
	s_barrier
	buffer_gl0_inv
	s_load_b32 s10, s[10:11], 0x8
	s_mul_i32 s1, s8, s1
	s_delay_alu instid0(SALU_CYCLE_1)
	s_sub_i32 s1, s13, s1
	s_waitcnt lgkmcnt(0)
	s_cmp_lt_i32 s1, s10
	s_cbranch_scc0 .LBB9_5
; %bb.23:                               ;   in Loop: Header=BB9_6 Depth=1
	s_add_i32 s8, s1, s9
	v_cmp_gt_i32_e32 vcc_lo, s22, v0
	s_ashr_i32 s9, s8, 31
	s_delay_alu instid0(SALU_CYCLE_1) | instskip(NEXT) | instid1(SALU_CYCLE_1)
	s_lshl_b64 s[10:11], s[8:9], 2
	s_add_u32 s10, s41, s10
	s_addc_u32 s11, s42, s11
	s_load_b32 s1, s[10:11], 0x0
	s_waitcnt lgkmcnt(0)
	s_cmp_lg_u32 s1, 1
	s_cbranch_scc1 .LBB9_30
; %bb.24:                               ;   in Loop: Header=BB9_6 Depth=1
	v_mov_b32_e32 v8, 0
	s_and_saveexec_b32 s1, vcc_lo
	s_cbranch_execz .LBB9_28
; %bb.25:                               ;   in Loop: Header=BB9_6 Depth=1
	v_mad_u64_u32 v[9:10], null, s8, s5, v[0:1]
	s_lshl_b64 s[20:21], s[6:7], 2
	v_dual_mov_b32 v8, 0 :: v_dual_mov_b32 v13, v0
	s_mov_b32 s9, 0
	s_delay_alu instid0(VALU_DEP_2) | instskip(NEXT) | instid1(VALU_DEP_1)
	v_ashrrev_i32_e32 v10, 31, v9
	v_lshlrev_b64 v[11:12], 2, v[9:10]
	v_add_co_u32 v9, vcc_lo, v2, s20
	v_add_co_ci_u32_e32 v10, vcc_lo, s21, v3, vcc_lo
	s_mov_b64 s[20:21], 0
	s_delay_alu instid0(VALU_DEP_3) | instskip(NEXT) | instid1(VALU_DEP_4)
	v_add_co_u32 v11, vcc_lo, s45, v11
	v_add_co_ci_u32_e32 v12, vcc_lo, s46, v12, vcc_lo
	s_set_inst_prefetch_distance 0x1
	.p2align	6
.LBB9_26:                               ;   Parent Loop BB9_6 Depth=1
                                        ; =>  This Inner Loop Header: Depth=2
	v_add_co_u32 v14, vcc_lo, v9, s20
	v_add_co_ci_u32_e32 v15, vcc_lo, s21, v10, vcc_lo
	v_add_co_u32 v16, vcc_lo, v11, s20
	v_add_co_ci_u32_e32 v17, vcc_lo, s21, v12, vcc_lo
	s_add_u32 s20, s20, s47
	global_load_b32 v14, v[14:15], off
	global_load_b32 v15, v[16:17], off
	s_addc_u32 s21, s21, 0
	v_add_nc_u32_e32 v13, s39, v13
	s_waitcnt vmcnt(0)
	v_div_scale_f32 v18, null, v15, v15, v14
	v_div_scale_f32 v21, vcc_lo, v14, v15, v14
	s_delay_alu instid0(VALU_DEP_2) | instskip(SKIP_2) | instid1(VALU_DEP_1)
	v_rcp_f32_e32 v19, v18
	s_waitcnt_depctr 0xfff
	v_fma_f32 v20, -v18, v19, 1.0
	v_fmac_f32_e32 v19, v20, v19
	s_delay_alu instid0(VALU_DEP_1) | instskip(NEXT) | instid1(VALU_DEP_1)
	v_mul_f32_e32 v20, v21, v19
	v_fma_f32 v22, -v18, v20, v21
	s_delay_alu instid0(VALU_DEP_1) | instskip(NEXT) | instid1(VALU_DEP_1)
	v_fmac_f32_e32 v20, v22, v19
	v_fma_f32 v18, -v18, v20, v21
	s_delay_alu instid0(VALU_DEP_1) | instskip(SKIP_1) | instid1(VALU_DEP_2)
	v_div_fmas_f32 v18, v18, v19, v20
	v_cmp_le_i32_e32 vcc_lo, s22, v13
	v_div_fixup_f32 v14, v18, v15, v14
	s_or_b32 s9, vcc_lo, s9
	s_delay_alu instid0(VALU_DEP_1)
	v_fmac_f32_e32 v8, v14, v14
	global_store_b32 v[16:17], v14, off
	s_and_not1_b32 exec_lo, exec_lo, s9
	s_cbranch_execnz .LBB9_26
; %bb.27:                               ;   in Loop: Header=BB9_6 Depth=1
	s_set_inst_prefetch_distance 0x2
	s_or_b32 exec_lo, exec_lo, s9
.LBB9_28:                               ;   in Loop: Header=BB9_6 Depth=1
	s_delay_alu instid0(SALU_CYCLE_1) | instskip(NEXT) | instid1(SALU_CYCLE_1)
	s_or_b32 exec_lo, exec_lo, s1
	s_and_not1_b32 vcc_lo, exec_lo, s48
	s_mov_b32 s1, s39
	ds_store_b32 v1, v8
	s_waitcnt lgkmcnt(0)
	s_waitcnt_vscnt null, 0x0
	s_barrier
	buffer_gl0_inv
	s_cbranch_vccz .LBB9_45
.LBB9_29:                               ;   in Loop: Header=BB9_6 Depth=1
	ds_load_b32 v8, v7
	s_waitcnt lgkmcnt(0)
	v_mul_f32_e32 v9, 0x4f800000, v8
	v_cmp_gt_f32_e32 vcc_lo, 0xf800000, v8
	s_delay_alu instid0(VALU_DEP_2) | instskip(NEXT) | instid1(VALU_DEP_1)
	v_cndmask_b32_e32 v8, v8, v9, vcc_lo
	v_sqrt_f32_e32 v9, v8
	s_waitcnt_depctr 0xfff
	v_add_nc_u32_e32 v10, -1, v9
	v_add_nc_u32_e32 v11, 1, v9
	s_delay_alu instid0(VALU_DEP_2) | instskip(NEXT) | instid1(VALU_DEP_2)
	v_fma_f32 v12, -v10, v9, v8
	v_fma_f32 v13, -v11, v9, v8
	s_delay_alu instid0(VALU_DEP_2) | instskip(NEXT) | instid1(VALU_DEP_1)
	v_cmp_ge_f32_e64 s1, 0, v12
	v_cndmask_b32_e64 v9, v9, v10, s1
	s_delay_alu instid0(VALU_DEP_3) | instskip(NEXT) | instid1(VALU_DEP_1)
	v_cmp_lt_f32_e64 s1, 0, v13
	v_cndmask_b32_e64 v9, v9, v11, s1
	s_load_b32 s1, s[10:11], 0x0
	s_delay_alu instid0(VALU_DEP_1) | instskip(NEXT) | instid1(VALU_DEP_1)
	v_mul_f32_e32 v10, 0x37800000, v9
	v_cndmask_b32_e32 v9, v9, v10, vcc_lo
	v_cmp_class_f32_e64 vcc_lo, v8, 0x260
	s_delay_alu instid0(VALU_DEP_2)
	v_cndmask_b32_e32 v8, v9, v8, vcc_lo
.LBB9_30:                               ;   in Loop: Header=BB9_6 Depth=1
	s_add_i32 s9, s50, s37
	s_delay_alu instid0(SALU_CYCLE_1) | instskip(NEXT) | instid1(SALU_CYCLE_1)
	s_lshl_b32 s9, 1, s9
	s_ashr_i32 s10, s9, 31
	s_delay_alu instid0(SALU_CYCLE_1) | instskip(NEXT) | instid1(SALU_CYCLE_1)
	s_add_i32 s9, s9, s10
	s_xor_b32 s9, s9, s10
	s_delay_alu instid0(SALU_CYCLE_1) | instskip(SKIP_1) | instid1(VALU_DEP_1)
	v_cvt_f32_u32_e32 v9, s9
	s_sub_i32 s20, 0, s9
	v_rcp_iflag_f32_e32 v9, v9
	s_waitcnt_depctr 0xfff
	v_mul_f32_e32 v9, 0x4f7ffffe, v9
	s_delay_alu instid0(VALU_DEP_1) | instskip(NEXT) | instid1(VALU_DEP_1)
	v_cvt_u32_f32_e32 v9, v9
	v_readfirstlane_b32 s11, v9
	s_delay_alu instid0(VALU_DEP_1) | instskip(NEXT) | instid1(SALU_CYCLE_1)
	s_mul_i32 s20, s20, s11
	s_mul_hi_u32 s20, s11, s20
	s_delay_alu instid0(SALU_CYCLE_1) | instskip(NEXT) | instid1(SALU_CYCLE_1)
	s_add_i32 s11, s11, s20
	s_mul_hi_u32 s11, s52, s11
	s_delay_alu instid0(SALU_CYCLE_1) | instskip(SKIP_2) | instid1(SALU_CYCLE_1)
	s_mul_i32 s20, s11, s9
	s_add_i32 s21, s11, 1
	s_sub_i32 s20, s52, s20
	s_sub_i32 s23, s20, s9
	s_cmp_ge_u32 s20, s9
	s_cselect_b32 s11, s21, s11
	s_cselect_b32 s20, s23, s20
	s_add_i32 s21, s11, 1
	s_cmp_ge_u32 s20, s9
	s_cselect_b32 s9, s21, s11
	s_xor_b32 s10, s51, s10
	s_delay_alu instid0(SALU_CYCLE_1) | instskip(NEXT) | instid1(SALU_CYCLE_1)
	s_xor_b32 s9, s9, s10
	s_sub_i32 s9, s9, s10
	s_waitcnt lgkmcnt(0)
	s_cmp_lg_u32 s1, 1
	s_cselect_b32 s1, -1, 0
	s_cmp_lt_i32 s9, 0
	s_cselect_b32 s10, -1, 0
	s_delay_alu instid0(SALU_CYCLE_1) | instskip(NEXT) | instid1(SALU_CYCLE_1)
	s_or_b32 s1, s1, s10
	s_and_b32 vcc_lo, exec_lo, s1
	s_cbranch_vccnz .LBB9_5
; %bb.31:                               ;   in Loop: Header=BB9_6 Depth=1
	s_mul_i32 s20, s8, s5
	s_lshl_b64 s[10:11], s[6:7], 2
	v_add_nc_u32_e32 v9, s20, v0
	v_cmp_gt_i32_e64 s1, s22, v0
	s_mov_b32 s7, 0
	s_delay_alu instid0(VALU_DEP_2) | instskip(NEXT) | instid1(VALU_DEP_1)
	v_ashrrev_i32_e32 v10, 31, v9
	v_lshlrev_b64 v[9:10], 2, v[9:10]
	s_delay_alu instid0(VALU_DEP_1) | instskip(NEXT) | instid1(VALU_DEP_2)
	v_add_co_u32 v9, vcc_lo, s45, v9
	v_add_co_ci_u32_e32 v10, vcc_lo, s46, v10, vcc_lo
	v_add_co_u32 v11, vcc_lo, v4, s10
	v_add_co_ci_u32_e32 v12, vcc_lo, s11, v5, vcc_lo
	s_branch .LBB9_33
.LBB9_32:                               ;   in Loop: Header=BB9_33 Depth=2
	s_or_b32 exec_lo, exec_lo, s10
	s_add_i32 s8, s7, 1
	s_cmp_lg_u32 s7, s9
	s_mov_b32 s7, s8
	s_waitcnt_vscnt null, 0x0
	s_barrier
	buffer_gl0_inv
	s_cbranch_scc0 .LBB9_5
.LBB9_33:                               ;   Parent Loop BB9_6 Depth=1
                                        ; =>  This Loop Header: Depth=2
                                        ;       Child Loop BB9_35 Depth 3
                                        ;       Child Loop BB9_38 Depth 3
	s_add_i32 s8, s7, s6
	s_cmp_lt_i32 s7, s15
	v_mov_b32_e32 v13, 0
	s_cselect_b32 s21, -1, 0
	s_delay_alu instid0(SALU_CYCLE_1) | instskip(NEXT) | instid1(SALU_CYCLE_1)
	s_and_b32 s10, s21, s1
	s_and_saveexec_b32 s23, s10
	s_cbranch_execz .LBB9_37
; %bb.34:                               ;   in Loop: Header=BB9_33 Depth=2
	v_dual_mov_b32 v13, 0 :: v_dual_mov_b32 v14, v0
	s_mov_b64 s[10:11], 0
	s_mov_b32 s24, 0
	.p2align	6
.LBB9_35:                               ;   Parent Loop BB9_6 Depth=1
                                        ;     Parent Loop BB9_33 Depth=2
                                        ; =>    This Inner Loop Header: Depth=3
	v_add_co_u32 v15, vcc_lo, v11, s10
	v_add_co_ci_u32_e32 v16, vcc_lo, s11, v12, vcc_lo
	global_load_b32 v15, v[15:16], off
	s_waitcnt vmcnt(0)
	v_add_nc_u32_e32 v17, s6, v15
	s_delay_alu instid0(VALU_DEP_1) | instskip(SKIP_4) | instid1(VALU_DEP_3)
	v_mad_u64_u32 v[15:16], null, v17, s19, s[8:9]
	v_add_co_u32 v17, vcc_lo, v9, s10
	v_add_co_ci_u32_e32 v18, vcc_lo, s11, v10, vcc_lo
	s_add_u32 s10, s10, s47
	s_addc_u32 s11, s11, 0
	v_ashrrev_i32_e32 v16, 31, v15
	s_delay_alu instid0(VALU_DEP_1) | instskip(NEXT) | instid1(VALU_DEP_1)
	v_lshlrev_b64 v[15:16], 2, v[15:16]
	v_add_co_u32 v15, vcc_lo, s2, v15
	s_delay_alu instid0(VALU_DEP_2) | instskip(SKIP_4) | instid1(VALU_DEP_1)
	v_add_co_ci_u32_e32 v16, vcc_lo, s3, v16, vcc_lo
	global_load_b32 v17, v[17:18], off
	flat_load_b32 v15, v[15:16]
	s_waitcnt vmcnt(0) lgkmcnt(0)
	v_dual_fmac_f32 v13, v15, v17 :: v_dual_add_nc_u32 v14, s39, v14
	v_cmp_le_i32_e32 vcc_lo, s22, v14
	s_or_b32 s24, vcc_lo, s24
	s_delay_alu instid0(SALU_CYCLE_1)
	s_and_not1_b32 exec_lo, exec_lo, s24
	s_cbranch_execnz .LBB9_35
; %bb.36:                               ;   in Loop: Header=BB9_33 Depth=2
	s_or_b32 exec_lo, exec_lo, s24
.LBB9_37:                               ;   in Loop: Header=BB9_33 Depth=2
	s_delay_alu instid0(SALU_CYCLE_1) | instskip(NEXT) | instid1(SALU_CYCLE_1)
	s_or_b32 exec_lo, exec_lo, s23
	s_and_not1_b32 vcc_lo, exec_lo, s48
	s_mov_b32 s10, s39
	ds_store_b32 v1, v13
	s_waitcnt lgkmcnt(0)
	s_barrier
	buffer_gl0_inv
	s_cbranch_vccnz .LBB9_42
	.p2align	6
.LBB9_38:                               ;   Parent Loop BB9_6 Depth=1
                                        ;     Parent Loop BB9_33 Depth=2
                                        ; =>    This Inner Loop Header: Depth=3
	s_lshr_b32 s11, s10, 1
	s_delay_alu instid0(SALU_CYCLE_1) | instskip(SKIP_1) | instid1(SALU_CYCLE_1)
	v_cmp_gt_u32_e32 vcc_lo, s11, v0
	s_and_b32 s24, s21, vcc_lo
	s_and_saveexec_b32 s23, s24
	s_cbranch_execz .LBB9_40
; %bb.39:                               ;   in Loop: Header=BB9_38 Depth=3
	v_lshl_add_u32 v14, s11, 2, v1
	ds_load_b32 v14, v14
	s_waitcnt lgkmcnt(0)
	v_add_f32_e32 v13, v13, v14
	ds_store_b32 v1, v13
.LBB9_40:                               ;   in Loop: Header=BB9_38 Depth=3
	s_or_b32 exec_lo, exec_lo, s23
	s_cmp_lt_u32 s10, 4
	s_waitcnt lgkmcnt(0)
	s_barrier
	buffer_gl0_inv
	s_cbranch_scc1 .LBB9_42
; %bb.41:                               ;   in Loop: Header=BB9_38 Depth=3
	s_mov_b32 s10, s11
	s_branch .LBB9_38
.LBB9_42:                               ;   in Loop: Header=BB9_33 Depth=2
	s_and_b32 s11, s0, s21
	s_delay_alu instid0(SALU_CYCLE_1)
	s_and_saveexec_b32 s10, s11
	s_cbranch_execz .LBB9_32
; %bb.43:                               ;   in Loop: Header=BB9_33 Depth=2
	v_div_scale_f32 v14, null, v8, v8, v13
	v_div_scale_f32 v17, vcc_lo, v13, v8, v13
	s_add_i32 s24, s8, s20
	s_delay_alu instid0(VALU_DEP_2) | instskip(SKIP_1) | instid1(SALU_CYCLE_1)
	v_rcp_f32_e32 v15, v14
	s_ashr_i32 s25, s24, 31
	s_lshl_b64 s[24:25], s[24:25], 2
	s_delay_alu instid0(SALU_CYCLE_1) | instskip(SKIP_3) | instid1(VALU_DEP_1)
	s_add_u32 s24, s34, s24
	s_addc_u32 s25, s35, s25
	s_waitcnt_depctr 0xfff
	v_fma_f32 v16, -v14, v15, 1.0
	v_fmac_f32_e32 v15, v16, v15
	s_delay_alu instid0(VALU_DEP_1) | instskip(NEXT) | instid1(VALU_DEP_1)
	v_mul_f32_e32 v16, v17, v15
	v_fma_f32 v18, -v14, v16, v17
	s_delay_alu instid0(VALU_DEP_1) | instskip(NEXT) | instid1(VALU_DEP_1)
	v_fmac_f32_e32 v16, v18, v15
	v_fma_f32 v14, -v14, v16, v17
	s_delay_alu instid0(VALU_DEP_1) | instskip(NEXT) | instid1(VALU_DEP_1)
	v_div_fmas_f32 v14, v14, v15, v16
	v_div_fixup_f32 v13, v14, v8, v13
	global_store_b32 v7, v13, s[24:25]
	s_branch .LBB9_32
	.p2align	6
.LBB9_44:                               ;   in Loop: Header=BB9_45 Depth=2
	s_or_b32 exec_lo, exec_lo, s20
	s_cmp_lt_u32 s1, 4
	s_mov_b32 s1, s9
	s_waitcnt lgkmcnt(0)
	s_barrier
	buffer_gl0_inv
	s_cbranch_scc1 .LBB9_29
.LBB9_45:                               ;   Parent Loop BB9_6 Depth=1
                                        ; =>  This Inner Loop Header: Depth=2
	s_lshr_b32 s9, s1, 1
	s_mov_b32 s20, exec_lo
	v_cmpx_gt_u32_e64 s9, v0
	s_cbranch_execz .LBB9_44
; %bb.46:                               ;   in Loop: Header=BB9_45 Depth=2
	v_lshl_add_u32 v9, s9, 2, v1
	ds_load_b32 v9, v9
	s_waitcnt lgkmcnt(0)
	v_add_f32_e32 v8, v8, v9
	ds_store_b32 v1, v8
	s_branch .LBB9_44
.LBB9_47:
	s_endpgm
	.section	.rodata,"a",@progbits
	.p2align	6, 0x0
	.amdhsa_kernel _ZN9rocsolver6v33100L26stedcx_mergeVectors_kernelILb0EfEEviiPT0_lS3_lS3_iilS3_S3_Pi
		.amdhsa_group_segment_fixed_size 0
		.amdhsa_private_segment_fixed_size 0
		.amdhsa_kernarg_size 344
		.amdhsa_user_sgpr_count 13
		.amdhsa_user_sgpr_dispatch_ptr 0
		.amdhsa_user_sgpr_queue_ptr 0
		.amdhsa_user_sgpr_kernarg_segment_ptr 1
		.amdhsa_user_sgpr_dispatch_id 0
		.amdhsa_user_sgpr_private_segment_size 0
		.amdhsa_wavefront_size32 1
		.amdhsa_uses_dynamic_stack 0
		.amdhsa_enable_private_segment 0
		.amdhsa_system_sgpr_workgroup_id_x 1
		.amdhsa_system_sgpr_workgroup_id_y 1
		.amdhsa_system_sgpr_workgroup_id_z 1
		.amdhsa_system_sgpr_workgroup_info 0
		.amdhsa_system_vgpr_workitem_id 0
		.amdhsa_next_free_vgpr 23
		.amdhsa_next_free_sgpr 55
		.amdhsa_reserve_vcc 1
		.amdhsa_float_round_mode_32 0
		.amdhsa_float_round_mode_16_64 0
		.amdhsa_float_denorm_mode_32 3
		.amdhsa_float_denorm_mode_16_64 3
		.amdhsa_dx10_clamp 1
		.amdhsa_ieee_mode 1
		.amdhsa_fp16_overflow 0
		.amdhsa_workgroup_processor_mode 1
		.amdhsa_memory_ordered 1
		.amdhsa_forward_progress 0
		.amdhsa_shared_vgpr_count 0
		.amdhsa_exception_fp_ieee_invalid_op 0
		.amdhsa_exception_fp_denorm_src 0
		.amdhsa_exception_fp_ieee_div_zero 0
		.amdhsa_exception_fp_ieee_overflow 0
		.amdhsa_exception_fp_ieee_underflow 0
		.amdhsa_exception_fp_ieee_inexact 0
		.amdhsa_exception_int_div_zero 0
	.end_amdhsa_kernel
	.section	.text._ZN9rocsolver6v33100L26stedcx_mergeVectors_kernelILb0EfEEviiPT0_lS3_lS3_iilS3_S3_Pi,"axG",@progbits,_ZN9rocsolver6v33100L26stedcx_mergeVectors_kernelILb0EfEEviiPT0_lS3_lS3_iilS3_S3_Pi,comdat
.Lfunc_end9:
	.size	_ZN9rocsolver6v33100L26stedcx_mergeVectors_kernelILb0EfEEviiPT0_lS3_lS3_iilS3_S3_Pi, .Lfunc_end9-_ZN9rocsolver6v33100L26stedcx_mergeVectors_kernelILb0EfEEviiPT0_lS3_lS3_iilS3_S3_Pi
                                        ; -- End function
	.section	.AMDGPU.csdata,"",@progbits
; Kernel info:
; codeLenInByte = 2860
; NumSgprs: 57
; NumVgprs: 23
; ScratchSize: 0
; MemoryBound: 0
; FloatMode: 240
; IeeeMode: 1
; LDSByteSize: 0 bytes/workgroup (compile time only)
; SGPRBlocks: 7
; VGPRBlocks: 2
; NumSGPRsForWavesPerEU: 57
; NumVGPRsForWavesPerEU: 23
; Occupancy: 16
; WaveLimiterHint : 1
; COMPUTE_PGM_RSRC2:SCRATCH_EN: 0
; COMPUTE_PGM_RSRC2:USER_SGPR: 13
; COMPUTE_PGM_RSRC2:TRAP_HANDLER: 0
; COMPUTE_PGM_RSRC2:TGID_X_EN: 1
; COMPUTE_PGM_RSRC2:TGID_Y_EN: 1
; COMPUTE_PGM_RSRC2:TGID_Z_EN: 1
; COMPUTE_PGM_RSRC2:TIDIG_COMP_CNT: 0
	.section	.text._ZN9rocsolver6v33100L25stedcx_mergeUpdate_kernelIfEEviiPT_lS3_iilS3_S3_Pi,"axG",@progbits,_ZN9rocsolver6v33100L25stedcx_mergeUpdate_kernelIfEEviiPT_lS3_iilS3_S3_Pi,comdat
	.globl	_ZN9rocsolver6v33100L25stedcx_mergeUpdate_kernelIfEEviiPT_lS3_iilS3_S3_Pi ; -- Begin function _ZN9rocsolver6v33100L25stedcx_mergeUpdate_kernelIfEEviiPT_lS3_iilS3_S3_Pi
	.p2align	8
	.type	_ZN9rocsolver6v33100L25stedcx_mergeUpdate_kernelIfEEviiPT_lS3_iilS3_S3_Pi,@function
_ZN9rocsolver6v33100L25stedcx_mergeUpdate_kernelIfEEviiPT_lS3_iilS3_S3_Pi: ; @_ZN9rocsolver6v33100L25stedcx_mergeUpdate_kernelIfEEviiPT_lS3_iilS3_S3_Pi
; %bb.0:
	s_clause 0x1
	s_load_b128 s[16:19], s[0:1], 0x18
	s_load_b256 s[4:11], s[0:1], 0x28
	s_waitcnt lgkmcnt(0)
	s_cmp_lg_u64 s[16:17], 0
	s_cbranch_scc0 .LBB10_27
; %bb.1:
	s_mul_i32 s2, s15, s5
	s_mul_hi_u32 s3, s15, s4
	s_ashr_i32 s25, s15, 31
	s_add_i32 s2, s3, s2
	s_mul_i32 s3, s25, s4
	s_ashr_i32 s5, s18, 31
	s_add_i32 s3, s2, s3
	s_mul_i32 s2, s15, s4
	s_mov_b32 s4, s18
	s_lshl_b64 s[2:3], s[2:3], 2
	s_delay_alu instid0(SALU_CYCLE_1) | instskip(SKIP_2) | instid1(SALU_CYCLE_1)
	s_add_u32 s12, s16, s2
	s_addc_u32 s16, s17, s3
	s_lshl_b64 s[2:3], s[4:5], 2
	s_add_u32 s2, s12, s2
	s_addc_u32 s3, s16, s3
	s_cbranch_execnz .LBB10_3
.LBB10_2:
	s_ashr_i32 s25, s15, 31
                                        ; implicit-def: $sgpr2_sgpr3
.LBB10_3:
	s_load_b64 s[4:5], s[0:1], 0x0
	s_waitcnt lgkmcnt(0)
	s_mul_i32 s12, s5, 5
	s_delay_alu instid0(SALU_CYCLE_1) | instskip(NEXT) | instid1(SALU_CYCLE_1)
	s_add_i32 s12, s12, 2
	s_mul_i32 s16, s12, s15
	s_delay_alu instid0(SALU_CYCLE_1) | instskip(NEXT) | instid1(SALU_CYCLE_1)
	s_ashr_i32 s17, s16, 31
	s_lshl_b64 s[20:21], s[16:17], 2
	s_mov_b32 s16, s5
	s_add_u32 s12, s10, s20
	s_addc_u32 s18, s11, s21
	s_ashr_i32 s17, s5, 31
	s_delay_alu instid0(SALU_CYCLE_1) | instskip(NEXT) | instid1(SALU_CYCLE_1)
	s_lshl_b64 s[22:23], s[16:17], 2
	s_add_u32 s16, s12, s22
	s_addc_u32 s17, s18, s23
	s_load_b32 s24, s[16:17], 0x4
	s_waitcnt lgkmcnt(0)
	s_cmp_ge_i32 s14, s24
	s_cbranch_scc1 .LBB10_26
; %bb.4:
	s_clause 0x1
	s_load_b128 s[28:31], s[0:1], 0x8
	s_load_b32 s33, s[0:1], 0x54
	v_mov_b32_e32 v5, 0
	s_waitcnt lgkmcnt(0)
	s_mul_i32 s0, s15, s31
	s_mul_hi_u32 s1, s15, s30
	s_mul_i32 s25, s25, s30
	s_add_i32 s1, s1, s0
	s_mul_i32 s0, s15, s30
	s_add_i32 s1, s1, s25
	s_mul_i32 s15, s15, s5
	s_lshl_b64 s[0:1], s[0:1], 2
	s_delay_alu instid0(SALU_CYCLE_1)
	s_add_u32 s25, s28, s0
	s_addc_u32 s26, s29, s1
	s_add_u32 s27, s16, s22
	s_addc_u32 s28, s17, s23
	;; [unrolled: 2-line block ×3, first 2 shown]
	s_lshl_b32 s0, s15, 1
	s_delay_alu instid0(SALU_CYCLE_1) | instskip(NEXT) | instid1(SALU_CYCLE_1)
	s_ashr_i32 s1, s0, 31
	s_lshl_b64 s[30:31], s[0:1], 2
	s_delay_alu instid0(SALU_CYCLE_1)
	s_add_u32 s1, s6, s30
	s_addc_u32 s6, s7, s31
	s_add_u32 s29, s1, s22
	s_addc_u32 s30, s6, s23
	s_lshl_b32 s31, 2, s4
	s_mul_i32 s6, s0, s5
	v_cvt_f32_u32_e32 v1, s31
	s_ashr_i32 s7, s6, 31
	s_and_b32 s33, 0xffff, s33
	s_ashr_i32 s34, s13, 31
	s_abs_i32 s35, s13
	v_rcp_iflag_f32_e32 v1, v1
	s_add_u32 s36, s36, 8
	s_addc_u32 s37, s37, 0
	s_add_u32 s1, s22, s20
	s_addc_u32 s15, s23, s21
	;; [unrolled: 2-line block ×3, first 2 shown]
	s_add_u32 s38, s1, 8
	v_cmp_eq_u32_e64 s0, 0, v0
	s_addc_u32 s39, s10, 0
	s_waitcnt_depctr 0xfff
	v_mul_f32_e32 v1, 0x4f7ffffe, v1
	s_lshl_b64 s[6:7], s[6:7], 2
	s_lshl_b32 s40, s33, 2
	s_add_u32 s41, s8, s6
	s_addc_u32 s42, s9, s7
	v_cvt_u32_f32_e32 v6, v1
	s_sub_i32 s43, 0, s31
	s_branch .LBB10_7
.LBB10_5:                               ;   in Loop: Header=BB10_7 Depth=1
	s_or_b32 exec_lo, exec_lo, s8
.LBB10_6:                               ;   in Loop: Header=BB10_7 Depth=1
	s_add_i32 s14, s14, 8
	s_delay_alu instid0(SALU_CYCLE_1)
	s_cmp_ge_i32 s14, s24
	s_cbranch_scc1 .LBB10_26
.LBB10_7:                               ; =>This Loop Header: Depth=1
                                        ;     Child Loop BB10_15 Depth 2
                                        ;     Child Loop BB10_18 Depth 2
	;; [unrolled: 1-line block ×3, first 2 shown]
	s_ashr_i32 s15, s14, 31
	s_delay_alu instid0(SALU_CYCLE_1)
	s_lshl_b64 s[6:7], s[14:15], 2
	s_waitcnt vmcnt(0) lgkmcnt(0)
	s_waitcnt_vscnt null, 0x0
	s_barrier
	s_add_u32 s6, s12, s6
	s_addc_u32 s7, s18, s7
	buffer_gl0_inv
	global_load_b64 v[1:2], v5, s[6:7]
	s_mov_b32 s7, 0
	s_waitcnt vmcnt(0)
	v_readfirstlane_b32 s6, v1
	v_readfirstlane_b32 s1, v2
	s_delay_alu instid0(VALU_DEP_1) | instskip(NEXT) | instid1(SALU_CYCLE_1)
	s_sub_i32 s1, s1, s6
	s_cmp_lt_i32 s1, 3
	s_cbranch_scc1 .LBB10_12
; %bb.8:                                ;   in Loop: Header=BB10_7 Depth=1
	s_cmp_lt_u32 s1, 5
	s_mov_b32 s7, 1
	s_cbranch_scc1 .LBB10_12
; %bb.9:                                ;   in Loop: Header=BB10_7 Depth=1
	s_cmp_lt_u32 s1, 33
	s_mov_b32 s7, 2
	s_cbranch_scc1 .LBB10_12
; %bb.10:                               ;   in Loop: Header=BB10_7 Depth=1
	s_cmpk_lt_u32 s1, 0xe9
	s_mov_b32 s7, 4
	s_cbranch_scc1 .LBB10_12
; %bb.11:                               ;   in Loop: Header=BB10_7 Depth=1
	s_cmpk_lt_u32 s1, 0x128
	s_cselect_b32 s7, 5, 7
	s_cmpk_lt_u32 s1, 0x79b
	s_cselect_b32 s7, s7, 8
.LBB10_12:                              ;   in Loop: Header=BB10_7 Depth=1
	s_delay_alu instid0(SALU_CYCLE_1) | instskip(SKIP_4) | instid1(SALU_CYCLE_1)
	s_lshl_b32 s8, 1, s7
	s_add_i32 s1, s1, -1
	v_cvt_f32_u32_e32 v1, s8
	s_sub_i32 s10, 0, s8
	s_ashr_i32 s11, s1, 31
	s_add_i32 s1, s1, s11
	s_delay_alu instid0(VALU_DEP_1) | instskip(SKIP_3) | instid1(VALU_DEP_1)
	v_rcp_iflag_f32_e32 v1, v1
	s_xor_b32 s1, s1, s11
	s_waitcnt_depctr 0xfff
	v_mul_f32_e32 v1, 0x4f7ffffe, v1
	v_cvt_u32_f32_e32 v1, v1
	s_delay_alu instid0(VALU_DEP_1) | instskip(NEXT) | instid1(VALU_DEP_1)
	v_readfirstlane_b32 s9, v1
	s_mul_i32 s10, s10, s9
	s_delay_alu instid0(SALU_CYCLE_1) | instskip(NEXT) | instid1(SALU_CYCLE_1)
	s_mul_hi_u32 s10, s9, s10
	s_add_i32 s9, s9, s10
	s_delay_alu instid0(SALU_CYCLE_1) | instskip(NEXT) | instid1(SALU_CYCLE_1)
	s_mul_hi_u32 s9, s1, s9
	s_mul_i32 s10, s9, s8
	s_delay_alu instid0(SALU_CYCLE_1)
	s_sub_i32 s1, s1, s10
	s_add_i32 s10, s9, 1
	s_sub_i32 s15, s1, s8
	s_cmp_ge_u32 s1, s8
	s_cselect_b32 s9, s10, s9
	s_cselect_b32 s1, s15, s1
	s_add_i32 s10, s9, 1
	s_cmp_ge_u32 s1, s8
	s_cselect_b32 s1, s10, s9
	s_delay_alu instid0(SALU_CYCLE_1) | instskip(NEXT) | instid1(SALU_CYCLE_1)
	s_xor_b32 s1, s1, s11
	s_sub_i32 s1, s1, s11
	s_delay_alu instid0(SALU_CYCLE_1) | instskip(NEXT) | instid1(SALU_CYCLE_1)
	s_add_i32 s1, s1, 1
	s_lshl_b32 s8, s1, s7
	s_delay_alu instid0(SALU_CYCLE_1) | instskip(SKIP_3) | instid1(SALU_CYCLE_1)
	s_cmp_ge_i32 s13, s8
	s_cselect_b32 s8, -1, 0
	s_cmp_le_i32 s7, s4
	s_cselect_b32 s7, -1, 0
	s_or_b32 s7, s7, s8
	s_delay_alu instid0(SALU_CYCLE_1)
	s_and_b32 vcc_lo, exec_lo, s7
	s_cbranch_vccnz .LBB10_6
; %bb.13:                               ;   in Loop: Header=BB10_7 Depth=1
	s_ashr_i32 s7, s6, 31
	s_delay_alu instid0(SALU_CYCLE_1) | instskip(NEXT) | instid1(SALU_CYCLE_1)
	s_lshl_b64 s[6:7], s[6:7], 2
	s_add_u32 s15, s16, s6
	s_addc_u32 s21, s17, s7
	s_add_u32 s46, s27, s6
	s_addc_u32 s47, s28, s7
	s_abs_i32 s8, s1
	s_delay_alu instid0(SALU_CYCLE_1) | instskip(SKIP_1) | instid1(VALU_DEP_1)
	v_cvt_f32_u32_e32 v1, s8
	s_sub_i32 s10, 0, s8
	v_rcp_iflag_f32_e32 v1, v1
	s_waitcnt_depctr 0xfff
	v_mul_f32_e32 v1, 0x4f7ffffe, v1
	s_delay_alu instid0(VALU_DEP_1) | instskip(NEXT) | instid1(VALU_DEP_1)
	v_cvt_u32_f32_e32 v1, v1
	v_readfirstlane_b32 s9, v1
	s_delay_alu instid0(VALU_DEP_1) | instskip(NEXT) | instid1(SALU_CYCLE_1)
	s_mul_i32 s10, s10, s9
	s_mul_hi_u32 s10, s9, s10
	s_delay_alu instid0(SALU_CYCLE_1)
	s_add_i32 s9, s9, s10
	s_ashr_i32 s10, s1, 31
	s_mul_hi_u32 s9, s35, s9
	s_xor_b32 s10, s34, s10
	s_mul_i32 s11, s9, s8
	s_add_i32 s20, s9, 1
	s_sub_i32 s11, s35, s11
	s_delay_alu instid0(SALU_CYCLE_1)
	s_sub_i32 s22, s11, s8
	s_cmp_ge_u32 s11, s8
	s_cselect_b32 s9, s20, s9
	s_cselect_b32 s11, s22, s11
	s_add_i32 s20, s9, 1
	s_cmp_ge_u32 s11, s8
	s_cselect_b32 s8, s20, s9
	v_readfirstlane_b32 s20, v6
	s_xor_b32 s8, s8, s10
	s_delay_alu instid0(SALU_CYCLE_1) | instskip(NEXT) | instid1(SALU_CYCLE_1)
	s_sub_i32 s8, s8, s10
	s_ashr_i32 s9, s8, 31
	s_delay_alu instid0(VALU_DEP_1)
	s_mul_i32 s44, s43, s20
	s_lshl_b64 s[10:11], s[8:9], 2
	s_mul_hi_u32 s44, s20, s44
	s_add_u32 s22, s46, s10
	s_addc_u32 s23, s47, s11
	s_add_i32 s45, s8, s9
	s_add_i32 s20, s20, s44
	s_xor_b32 s45, s45, s9
	s_delay_alu instid0(SALU_CYCLE_1) | instskip(NEXT) | instid1(SALU_CYCLE_1)
	s_mul_hi_u32 s20, s45, s20
	s_mul_i32 s20, s20, s31
	s_delay_alu instid0(SALU_CYCLE_1) | instskip(NEXT) | instid1(SALU_CYCLE_1)
	s_sub_i32 s20, s45, s20
	s_sub_i32 s44, s20, s31
	s_cmp_ge_u32 s20, s31
	s_cselect_b32 s20, s44, s20
	s_delay_alu instid0(SALU_CYCLE_1) | instskip(SKIP_2) | instid1(SALU_CYCLE_1)
	s_sub_i32 s44, s20, s31
	s_cmp_ge_u32 s20, s31
	s_cselect_b32 s20, s44, s20
	s_xor_b32 s20, s20, s9
	s_delay_alu instid0(SALU_CYCLE_1) | instskip(NEXT) | instid1(SALU_CYCLE_1)
	s_sub_i32 s20, s20, s9
	s_sub_i32 s44, s8, s20
	s_delay_alu instid0(SALU_CYCLE_1) | instskip(NEXT) | instid1(SALU_CYCLE_1)
	s_ashr_i32 s45, s44, 31
	s_lshl_b64 s[44:45], s[44:45], 2
	s_delay_alu instid0(SALU_CYCLE_1)
	s_add_u32 s44, s46, s44
	s_addc_u32 s45, s47, s45
	s_add_u32 s46, s15, s10
	s_addc_u32 s47, s21, s11
	s_clause 0x2
	global_load_b32 v2, v5, s[46:47] offset:8
	global_load_b32 v1, v5, s[22:23] offset:8
	;; [unrolled: 1-line block ×3, first 2 shown]
	s_cmp_lt_i32 s20, 1
	s_waitcnt vmcnt(2)
	v_mov_b32_e32 v8, v2
	s_cbranch_scc1 .LBB10_16
; %bb.14:                               ;   in Loop: Header=BB10_7 Depth=1
	s_add_i32 s9, s20, 1
	s_add_u32 s15, s6, s10
	s_addc_u32 s44, s7, s11
	s_ashr_i32 s21, s20, 31
	v_mov_b32_e32 v8, v2
	s_lshl_b64 s[22:23], s[20:21], 2
	s_delay_alu instid0(SALU_CYCLE_1)
	s_sub_u32 s15, s15, s22
	s_subb_u32 s21, s44, s23
	s_add_u32 s22, s38, s15
	s_addc_u32 s23, s39, s21
.LBB10_15:                              ;   Parent Loop BB10_7 Depth=1
                                        ; =>  This Inner Loop Header: Depth=2
	global_load_b32 v3, v5, s[22:23]
	s_add_i32 s9, s9, -1
	s_add_u32 s22, s22, 4
	s_addc_u32 s23, s23, 0
	s_cmp_lt_u32 s9, 2
	s_waitcnt vmcnt(0)
	v_add_nc_u32_e32 v8, v3, v8
	s_cbranch_scc0 .LBB10_15
.LBB10_16:                              ;   in Loop: Header=BB10_7 Depth=1
	s_not_b32 s9, s20
	s_delay_alu instid0(SALU_CYCLE_1) | instskip(NEXT) | instid1(SALU_CYCLE_1)
	s_add_i32 s22, s31, s9
	s_cmp_lt_i32 s22, 1
	s_cbranch_scc1 .LBB10_19
; %bb.17:                               ;   in Loop: Header=BB10_7 Depth=1
	s_ashr_i32 s23, s22, 31
	s_delay_alu instid0(SALU_CYCLE_1) | instskip(NEXT) | instid1(SALU_CYCLE_1)
	s_lshl_b64 s[22:23], s[22:23], 2
	s_add_u32 s6, s6, s22
	s_addc_u32 s7, s7, s23
	s_add_u32 s6, s6, s10
	s_addc_u32 s7, s7, s11
	;; [unrolled: 2-line block ×3, first 2 shown]
	s_sub_i32 s9, s31, s20
.LBB10_18:                              ;   Parent Loop BB10_7 Depth=1
                                        ; =>  This Inner Loop Header: Depth=2
	global_load_b32 v3, v5, s[6:7]
	s_add_u32 s6, s6, -4
	s_addc_u32 s7, s7, -1
	s_add_i32 s9, s9, -1
	s_delay_alu instid0(SALU_CYCLE_1)
	s_cmp_lt_u32 s9, 2
	s_waitcnt vmcnt(0)
	v_add_nc_u32_e32 v8, v3, v8
	s_cbranch_scc0 .LBB10_18
.LBB10_19:                              ;   in Loop: Header=BB10_7 Depth=1
	s_mul_i32 s1, s8, s1
	s_delay_alu instid0(SALU_CYCLE_1) | instskip(NEXT) | instid1(SALU_CYCLE_1)
	s_sub_i32 s1, s13, s1
	v_cmp_lt_i32_e32 vcc_lo, s1, v2
	s_cbranch_vccz .LBB10_6
; %bb.20:                               ;   in Loop: Header=BB10_7 Depth=1
	s_waitcnt vmcnt(1)
	v_add_nc_u32_e32 v2, s1, v1
	s_delay_alu instid0(VALU_DEP_1) | instskip(NEXT) | instid1(VALU_DEP_1)
	v_ashrrev_i32_e32 v3, 31, v2
	v_lshlrev_b64 v[3:4], 2, v[2:3]
	s_delay_alu instid0(VALU_DEP_1) | instskip(NEXT) | instid1(VALU_DEP_2)
	v_add_co_u32 v9, vcc_lo, s36, v3
	v_add_co_ci_u32_e32 v10, vcc_lo, s37, v4, vcc_lo
	global_load_b32 v1, v[9:10], off
	s_waitcnt vmcnt(0)
	v_cmp_ne_u32_e32 vcc_lo, 1, v1
	s_cbranch_vccnz .LBB10_6
; %bb.21:                               ;   in Loop: Header=BB10_7 Depth=1
	s_and_saveexec_b32 s1, s0
	s_cbranch_execz .LBB10_23
; %bb.22:                               ;   in Loop: Header=BB10_7 Depth=1
	v_add_co_u32 v9, vcc_lo, s29, v3
	v_add_co_ci_u32_e32 v10, vcc_lo, s30, v4, vcc_lo
	v_add_co_u32 v3, vcc_lo, s25, v3
	v_add_co_ci_u32_e32 v4, vcc_lo, s26, v4, vcc_lo
	global_load_b32 v1, v[9:10], off
	s_waitcnt vmcnt(0)
	global_store_b32 v[3:4], v1, off
.LBB10_23:                              ;   in Loop: Header=BB10_7 Depth=1
	s_or_b32 exec_lo, exec_lo, s1
	s_delay_alu instid0(SALU_CYCLE_1)
	s_mov_b32 s8, exec_lo
	v_cmpx_lt_i32_e64 v0, v8
	s_cbranch_execz .LBB10_5
; %bb.24:                               ;   in Loop: Header=BB10_7 Depth=1
	v_add_nc_u32_e32 v1, v7, v0
	s_mov_b64 s[6:7], 0
	s_mov_b32 s9, 0
	s_delay_alu instid0(VALU_DEP_1) | instskip(SKIP_2) | instid1(VALU_DEP_3)
	v_mad_u64_u32 v[3:4], null, v2, s19, v[1:2]
	v_mad_u64_u32 v[9:10], null, v2, s5, v[1:2]
	v_add_nc_u32_e32 v2, v8, v7
	v_ashrrev_i32_e32 v4, 31, v3
	s_delay_alu instid0(VALU_DEP_3) | instskip(NEXT) | instid1(VALU_DEP_2)
	v_ashrrev_i32_e32 v10, 31, v9
	v_lshlrev_b64 v[3:4], 2, v[3:4]
	s_delay_alu instid0(VALU_DEP_2) | instskip(NEXT) | instid1(VALU_DEP_2)
	v_lshlrev_b64 v[7:8], 2, v[9:10]
	v_add_co_u32 v3, vcc_lo, s2, v3
	s_delay_alu instid0(VALU_DEP_3) | instskip(NEXT) | instid1(VALU_DEP_3)
	v_add_co_ci_u32_e32 v4, vcc_lo, s3, v4, vcc_lo
	v_add_co_u32 v7, vcc_lo, s41, v7
	s_delay_alu instid0(VALU_DEP_4)
	v_add_co_ci_u32_e32 v8, vcc_lo, s42, v8, vcc_lo
	.p2align	6
.LBB10_25:                              ;   Parent Loop BB10_7 Depth=1
                                        ; =>  This Inner Loop Header: Depth=2
	s_delay_alu instid0(VALU_DEP_2) | instskip(NEXT) | instid1(VALU_DEP_2)
	v_add_co_u32 v9, vcc_lo, v7, s6
	v_add_co_ci_u32_e32 v10, vcc_lo, s7, v8, vcc_lo
	v_add_nc_u32_e32 v1, s33, v1
	global_load_b32 v11, v[9:10], off
	v_add_co_u32 v9, vcc_lo, v3, s6
	v_cmp_ge_i32_e64 s1, v1, v2
	v_add_co_ci_u32_e32 v10, vcc_lo, s7, v4, vcc_lo
	s_add_u32 s6, s6, s40
	s_addc_u32 s7, s7, 0
	s_delay_alu instid0(VALU_DEP_2)
	s_or_b32 s9, s1, s9
	s_waitcnt vmcnt(0)
	flat_store_b32 v[9:10], v11
	s_and_not1_b32 exec_lo, exec_lo, s9
	s_cbranch_execnz .LBB10_25
	s_branch .LBB10_5
.LBB10_26:
	s_endpgm
.LBB10_27:
                                        ; implicit-def: $sgpr2_sgpr3
                                        ; implicit-def: $sgpr24_sgpr25
	s_branch .LBB10_2
	.section	.rodata,"a",@progbits
	.p2align	6, 0x0
	.amdhsa_kernel _ZN9rocsolver6v33100L25stedcx_mergeUpdate_kernelIfEEviiPT_lS3_iilS3_S3_Pi
		.amdhsa_group_segment_fixed_size 0
		.amdhsa_private_segment_fixed_size 0
		.amdhsa_kernarg_size 328
		.amdhsa_user_sgpr_count 13
		.amdhsa_user_sgpr_dispatch_ptr 0
		.amdhsa_user_sgpr_queue_ptr 0
		.amdhsa_user_sgpr_kernarg_segment_ptr 1
		.amdhsa_user_sgpr_dispatch_id 0
		.amdhsa_user_sgpr_private_segment_size 0
		.amdhsa_wavefront_size32 1
		.amdhsa_uses_dynamic_stack 0
		.amdhsa_enable_private_segment 0
		.amdhsa_system_sgpr_workgroup_id_x 1
		.amdhsa_system_sgpr_workgroup_id_y 1
		.amdhsa_system_sgpr_workgroup_id_z 1
		.amdhsa_system_sgpr_workgroup_info 0
		.amdhsa_system_vgpr_workitem_id 0
		.amdhsa_next_free_vgpr 12
		.amdhsa_next_free_sgpr 48
		.amdhsa_reserve_vcc 1
		.amdhsa_float_round_mode_32 0
		.amdhsa_float_round_mode_16_64 0
		.amdhsa_float_denorm_mode_32 3
		.amdhsa_float_denorm_mode_16_64 3
		.amdhsa_dx10_clamp 1
		.amdhsa_ieee_mode 1
		.amdhsa_fp16_overflow 0
		.amdhsa_workgroup_processor_mode 1
		.amdhsa_memory_ordered 1
		.amdhsa_forward_progress 0
		.amdhsa_shared_vgpr_count 0
		.amdhsa_exception_fp_ieee_invalid_op 0
		.amdhsa_exception_fp_denorm_src 0
		.amdhsa_exception_fp_ieee_div_zero 0
		.amdhsa_exception_fp_ieee_overflow 0
		.amdhsa_exception_fp_ieee_underflow 0
		.amdhsa_exception_fp_ieee_inexact 0
		.amdhsa_exception_int_div_zero 0
	.end_amdhsa_kernel
	.section	.text._ZN9rocsolver6v33100L25stedcx_mergeUpdate_kernelIfEEviiPT_lS3_iilS3_S3_Pi,"axG",@progbits,_ZN9rocsolver6v33100L25stedcx_mergeUpdate_kernelIfEEviiPT_lS3_iilS3_S3_Pi,comdat
.Lfunc_end10:
	.size	_ZN9rocsolver6v33100L25stedcx_mergeUpdate_kernelIfEEviiPT_lS3_iilS3_S3_Pi, .Lfunc_end10-_ZN9rocsolver6v33100L25stedcx_mergeUpdate_kernelIfEEviiPT_lS3_iilS3_S3_Pi
                                        ; -- End function
	.section	.AMDGPU.csdata,"",@progbits
; Kernel info:
; codeLenInByte = 1656
; NumSgprs: 50
; NumVgprs: 12
; ScratchSize: 0
; MemoryBound: 0
; FloatMode: 240
; IeeeMode: 1
; LDSByteSize: 0 bytes/workgroup (compile time only)
; SGPRBlocks: 6
; VGPRBlocks: 1
; NumSGPRsForWavesPerEU: 50
; NumVGPRsForWavesPerEU: 12
; Occupancy: 16
; WaveLimiterHint : 1
; COMPUTE_PGM_RSRC2:SCRATCH_EN: 0
; COMPUTE_PGM_RSRC2:USER_SGPR: 13
; COMPUTE_PGM_RSRC2:TRAP_HANDLER: 0
; COMPUTE_PGM_RSRC2:TGID_X_EN: 1
; COMPUTE_PGM_RSRC2:TGID_Y_EN: 1
; COMPUTE_PGM_RSRC2:TGID_Z_EN: 1
; COMPUTE_PGM_RSRC2:TIDIG_COMP_CNT: 0
	.section	.text._ZN9rocsolver6v33100L23stedcx_synthesis_kernelIfEEv15rocblas_erange_iiiPT_lPiS4_lS4_iliS5_S4_S3_,"axG",@progbits,_ZN9rocsolver6v33100L23stedcx_synthesis_kernelIfEEv15rocblas_erange_iiiPT_lPiS4_lS4_iliS5_S4_S3_,comdat
	.globl	_ZN9rocsolver6v33100L23stedcx_synthesis_kernelIfEEv15rocblas_erange_iiiPT_lPiS4_lS4_iliS5_S4_S3_ ; -- Begin function _ZN9rocsolver6v33100L23stedcx_synthesis_kernelIfEEv15rocblas_erange_iiiPT_lPiS4_lS4_iliS5_S4_S3_
	.p2align	8
	.type	_ZN9rocsolver6v33100L23stedcx_synthesis_kernelIfEEv15rocblas_erange_iiiPT_lPiS4_lS4_iliS5_S4_S3_,@function
_ZN9rocsolver6v33100L23stedcx_synthesis_kernelIfEEv15rocblas_erange_iiiPT_lPiS4_lS4_iliS5_S4_S3_: ; @_ZN9rocsolver6v33100L23stedcx_synthesis_kernelIfEEv15rocblas_erange_iiiPT_lPiS4_lS4_iliS5_S4_S3_
; %bb.0:
	s_clause 0x3
	s_load_b32 s2, s[0:1], 0x7c
	s_load_b256 s[20:27], s[0:1], 0x10
	s_load_b128 s[8:11], s[0:1], 0x30
	s_load_b128 s[4:7], s[0:1], 0x0
	s_ashr_i32 s19, s15, 31
	s_mov_b32 s18, s15
	s_waitcnt lgkmcnt(0)
	s_and_b32 s33, s2, 0xffff
	s_mul_i32 s3, s15, s23
	s_mul_hi_u32 s12, s15, s22
	s_mul_i32 s13, s19, s22
	s_add_i32 s3, s12, s3
	s_mul_i32 s2, s15, s22
	s_add_i32 s3, s3, s13
	s_mul_i32 s9, s15, s9
	s_lshl_b64 s[2:3], s[2:3], 2
	s_mul_hi_u32 s12, s15, s8
	s_add_u32 s16, s20, s2
	s_mul_i32 s13, s19, s8
	s_addc_u32 s17, s21, s3
	s_add_i32 s3, s12, s9
	s_mul_i32 s2, s15, s8
	s_add_i32 s3, s3, s13
	s_delay_alu instid0(SALU_CYCLE_1) | instskip(NEXT) | instid1(SALU_CYCLE_1)
	s_lshl_b64 s[2:3], s[2:3], 2
	s_add_u32 s40, s26, s2
	s_addc_u32 s41, s27, s3
	s_lshl_b64 s[2:3], s[18:19], 2
	s_delay_alu instid0(SALU_CYCLE_1)
	s_add_u32 s8, s24, s2
	s_addc_u32 s9, s25, s3
	s_cmpk_lg_i32 s4, 0xe7
	s_mov_b32 s2, -1
	s_cbranch_scc0 .LBB11_52
; %bb.1:
	s_load_b128 s[12:15], s[0:1], 0x58
	s_mul_i32 s2, s5, 5
	s_mov_b32 s30, s5
	s_add_i32 s2, s2, 2
	s_mov_b32 s44, exec_lo
	s_mul_i32 s2, s2, s18
	s_delay_alu instid0(SALU_CYCLE_1) | instskip(NEXT) | instid1(SALU_CYCLE_1)
	s_ashr_i32 s3, s2, 31
	s_lshl_b64 s[2:3], s[2:3], 2
	s_waitcnt lgkmcnt(0)
	s_add_u32 s2, s12, s2
	s_addc_u32 s3, s13, s3
	s_ashr_i32 s31, s5, 31
	s_delay_alu instid0(SALU_CYCLE_1) | instskip(NEXT) | instid1(SALU_CYCLE_1)
	s_lshl_b64 s[12:13], s[30:31], 2
	s_add_u32 s38, s2, s12
	s_addc_u32 s39, s3, s13
	s_lshl_b32 s2, s5, 1
	s_delay_alu instid0(SALU_CYCLE_1) | instskip(NEXT) | instid1(SALU_CYCLE_1)
	s_ashr_i32 s3, s2, 31
	s_lshl_b64 s[2:3], s[2:3], 2
	s_delay_alu instid0(SALU_CYCLE_1)
	s_add_u32 s42, s38, s2
	s_addc_u32 s43, s39, s3
	v_cmpx_eq_u32_e32 0, v0
	s_cbranch_execz .LBB11_43
; %bb.2:
	s_lshl_b32 s45, s5, 2
	s_delay_alu instid0(SALU_CYCLE_1) | instskip(NEXT) | instid1(SALU_CYCLE_1)
	s_or_b32 s2, s45, 2
	s_mul_i32 s2, s2, s18
	s_delay_alu instid0(SALU_CYCLE_1) | instskip(NEXT) | instid1(SALU_CYCLE_1)
	s_ashr_i32 s3, s2, 31
	s_lshl_b64 s[2:3], s[2:3], 2
	s_delay_alu instid0(SALU_CYCLE_1)
	s_add_u32 s20, s14, s2
	s_addc_u32 s21, s15, s3
	s_cmp_gt_i32 s5, 0
	s_load_b64 s[22:23], s[20:21], 0x0
	s_cselect_b32 s3, -1, 0
	s_cmpk_eq_i32 s4, 0xe9
	s_cbranch_scc1 .LBB11_8
; %bb.3:
	s_mov_b32 s4, 0
	s_and_not1_b32 vcc_lo, exec_lo, s3
	s_mov_b32 s28, 0
	s_cbranch_vccnz .LBB11_9
; %bb.4:
	v_dual_mov_b32 v1, 0 :: v_dual_mov_b32 v2, 1
	s_add_u32 s24, s42, 8
	s_addc_u32 s25, s43, 0
	s_mov_b64 s[26:27], s[16:17]
	s_mov_b32 s31, s30
	s_set_inst_prefetch_distance 0x1
	s_branch .LBB11_6
	.p2align	6
.LBB11_5:                               ;   in Loop: Header=BB11_6 Depth=1
	s_add_i32 s31, s31, -1
	s_add_u32 s24, s24, 4
	s_addc_u32 s25, s25, 0
	s_add_u32 s26, s26, 4
	s_addc_u32 s27, s27, 0
	s_cmp_eq_u32 s31, 0
	s_cbranch_scc1 .LBB11_9
.LBB11_6:                               ; =>This Inner Loop Header: Depth=1
	global_load_b32 v3, v1, s[26:27]
	global_store_b32 v1, v1, s[24:25]
	s_waitcnt vmcnt(0) lgkmcnt(0)
	v_cmp_nle_f32_e32 vcc_lo, s22, v3
	v_cmp_nge_f32_e64 s2, s23, v3
	s_delay_alu instid0(VALU_DEP_1) | instskip(NEXT) | instid1(SALU_CYCLE_1)
	s_or_b32 s2, vcc_lo, s2
	s_and_b32 vcc_lo, exec_lo, s2
	s_cbranch_vccnz .LBB11_5
; %bb.7:                                ;   in Loop: Header=BB11_6 Depth=1
	s_ashr_i32 s29, s28, 31
	s_delay_alu instid0(SALU_CYCLE_1)
	s_lshl_b64 s[34:35], s[28:29], 2
	s_add_i32 s28, s28, 1
	s_add_u32 s34, s40, s34
	s_addc_u32 s35, s41, s35
	s_clause 0x1
	global_store_b32 v1, v2, s[24:25]
	global_store_b32 v1, v3, s[34:35]
	s_branch .LBB11_5
.LBB11_8:
	s_mov_b32 s4, -1
                                        ; implicit-def: $sgpr28
.LBB11_9:
	s_set_inst_prefetch_distance 0x2
	s_and_not1_b32 vcc_lo, exec_lo, s4
	s_cbranch_vccnz .LBB11_42
; %bb.10:
	s_add_u32 s2, s20, s12
	s_addc_u32 s4, s21, s13
	s_add_u32 s24, s2, 12
	s_addc_u32 s25, s4, 0
	;; [unrolled: 2-line block ×3, first 2 shown]
	s_and_not1_b32 vcc_lo, exec_lo, s3
	s_cbranch_vccnz .LBB11_15
; %bb.11:
	s_add_u32 s28, s42, 8
	s_addc_u32 s29, s43, 0
	s_add_u32 s3, s38, 8
	v_dual_mov_b32 v1, 0 :: v_dual_mov_b32 v2, 1
	s_addc_u32 s4, s39, 0
	s_add_u32 s31, s46, -4
	s_addc_u32 s36, s47, -1
	s_mov_b32 s37, 0
	s_mov_b64 s[34:35], s[16:17]
	s_mov_b32 s26, 0
	s_set_inst_prefetch_distance 0x1
	s_branch .LBB11_13
	.p2align	6
.LBB11_12:                              ;   in Loop: Header=BB11_13 Depth=1
	s_add_i32 s37, s37, 1
	s_add_u32 s28, s28, 4
	s_addc_u32 s29, s29, 0
	s_add_u32 s34, s34, 4
	s_addc_u32 s35, s35, 0
	s_cmp_eq_u32 s5, s37
	s_cbranch_scc1 .LBB11_16
.LBB11_13:                              ; =>This Inner Loop Header: Depth=1
	global_load_b32 v3, v1, s[34:35]
	global_store_b32 v1, v1, s[28:29]
	s_waitcnt vmcnt(0) lgkmcnt(0)
	v_cmp_nle_f32_e32 vcc_lo, s22, v3
	v_cmp_nge_f32_e64 s2, s23, v3
	s_delay_alu instid0(VALU_DEP_1) | instskip(NEXT) | instid1(SALU_CYCLE_1)
	s_or_b32 s2, vcc_lo, s2
	s_and_b32 vcc_lo, exec_lo, s2
	s_cbranch_vccnz .LBB11_12
; %bb.14:                               ;   in Loop: Header=BB11_13 Depth=1
	s_ashr_i32 s27, s26, 31
	s_add_i32 s2, s26, 1
	s_lshl_b64 s[48:49], s[26:27], 2
	v_mov_b32_e32 v4, s37
	s_add_u32 s50, s3, s48
	s_addc_u32 s51, s4, s49
	s_add_i32 s26, s26, s5
	global_store_b32 v1, v2, s[28:29]
	s_ashr_i32 s27, s26, 31
	s_delay_alu instid0(SALU_CYCLE_1) | instskip(NEXT) | instid1(SALU_CYCLE_1)
	s_lshl_b64 s[26:27], s[26:27], 2
	s_add_u32 s52, s31, s26
	s_addc_u32 s53, s36, s27
	s_add_u32 s48, s31, s48
	s_addc_u32 s49, s36, s49
	s_mov_b32 s26, s2
	s_clause 0x2
	global_store_b32 v1, v3, s[48:49]
	global_store_b32 v1, v3, s[52:53]
	;; [unrolled: 1-line block ×3, first 2 shown]
	s_branch .LBB11_12
.LBB11_15:
	s_mov_b32 s26, 0
.LBB11_16:
	s_set_inst_prefetch_distance 0x2
	s_cmp_lt_i32 s26, 2
	s_mul_hi_i32 s51, s30, 12
	s_mul_i32 s52, s30, 12
	s_cbranch_scc1 .LBB11_23
; %bb.17:
	s_add_u32 s2, s46, s12
	s_addc_u32 s3, s47, s13
	s_add_u32 s4, s2, -4
	s_waitcnt lgkmcnt(0)
	s_addc_u32 s22, s3, -1
	s_add_u32 s27, s2, -8
	s_addc_u32 s48, s3, -1
	s_add_i32 s2, s45, 2
	v_mov_b32_e32 v1, 0
	s_mul_i32 s2, s18, s2
	s_mov_b32 s28, 1
	s_ashr_i32 s3, s2, 31
	s_delay_alu instid0(SALU_CYCLE_1) | instskip(NEXT) | instid1(SALU_CYCLE_1)
	s_lshl_b64 s[2:3], s[2:3], 2
	s_add_u32 s2, s52, s2
	s_addc_u32 s3, s51, s3
	s_add_u32 s2, s2, s14
	s_addc_u32 s3, s3, s15
	s_add_u32 s2, s2, 12
	s_addc_u32 s3, s3, 0
	s_set_inst_prefetch_distance 0x1
	s_branch .LBB11_19
	.p2align	6
.LBB11_18:                              ;   in Loop: Header=BB11_19 Depth=1
	s_add_i32 s28, s28, 1
	s_add_u32 s2, s2, 4
	s_addc_u32 s3, s3, 0
	s_cmp_lg_u32 s28, s26
	s_cbranch_scc0 .LBB11_23
.LBB11_19:                              ; =>This Loop Header: Depth=1
                                        ;     Child Loop BB11_20 Depth 2
	s_ashr_i32 s29, s28, 31
	s_mov_b64 s[36:37], s[2:3]
	s_lshl_b64 s[30:31], s[28:29], 2
	s_add_i32 s29, s28, -1
	s_add_u32 s30, s27, s30
	s_addc_u32 s31, s48, s31
	s_mov_b32 s35, s28
	global_load_b32 v2, v1, s[30:31]
	s_mov_b32 s34, s29
	s_waitcnt vmcnt(0)
	v_mov_b32_e32 v3, v2
.LBB11_20:                              ;   Parent Loop BB11_19 Depth=1
                                        ; =>  This Inner Loop Header: Depth=2
	global_load_b32 v4, v1, s[36:37]
	s_waitcnt vmcnt(0)
	v_cmp_lt_f32_e32 vcc_lo, v4, v3
	s_and_b32 s49, vcc_lo, exec_lo
	v_cndmask_b32_e32 v3, v3, v4, vcc_lo
	s_cselect_b32 s34, s35, s34
	s_add_i32 s35, s35, 1
	s_add_u32 s36, s36, 4
	s_addc_u32 s37, s37, 0
	s_cmp_ge_i32 s35, s26
	s_cbranch_scc0 .LBB11_20
; %bb.21:                               ;   in Loop: Header=BB11_19 Depth=1
	s_cmp_lg_u32 s34, s29
	s_cbranch_scc0 .LBB11_18
; %bb.22:                               ;   in Loop: Header=BB11_19 Depth=1
	s_ashr_i32 s35, s34, 31
	s_delay_alu instid0(SALU_CYCLE_1) | instskip(NEXT) | instid1(SALU_CYCLE_1)
	s_lshl_b64 s[34:35], s[34:35], 2
	s_add_u32 s34, s4, s34
	s_addc_u32 s35, s22, s35
	s_clause 0x1
	global_store_b32 v1, v2, s[34:35]
	global_store_b32 v1, v3, s[30:31]
	s_branch .LBB11_18
.LBB11_23:
	s_set_inst_prefetch_distance 0x2
	s_cmp_lt_i32 s26, 1
	s_cbranch_scc1 .LBB11_41
; %bb.24:
	s_add_i32 s4, s26, -1
	s_cmp_gt_i32 s5, 1
	v_mov_b32_e32 v1, 0
	s_waitcnt lgkmcnt(0)
	s_cselect_b32 s22, -1, 0
	s_add_u32 s27, s46, -4
	s_addc_u32 s46, s47, -1
	s_add_u32 s47, s38, 8
	s_addc_u32 s48, s39, 0
	s_add_u32 s49, s42, 8
	s_addc_u32 s50, s43, 0
	s_add_i32 s45, s45, 2
	s_mov_b32 s31, 0
	s_mul_i32 s2, s18, s45
	s_mov_b32 s30, s31
	s_ashr_i32 s3, s2, 31
	s_mov_b32 s28, s31
	s_lshl_b64 s[2:3], s[2:3], 2
	s_delay_alu instid0(SALU_CYCLE_1)
	s_add_u32 s2, s2, s14
	s_addc_u32 s3, s3, s15
	s_add_u32 s14, s2, s52
	s_addc_u32 s15, s3, s51
	;; [unrolled: 2-line block ×3, first 2 shown]
	s_add_i32 s45, s5, -1
	s_add_u32 s34, s2, 12
	s_addc_u32 s35, s3, 0
	s_branch .LBB11_27
.LBB11_25:                              ;   in Loop: Header=BB11_27 Depth=1
	s_mov_b32 s28, s2
.LBB11_26:                              ;   in Loop: Header=BB11_27 Depth=1
	s_add_i32 s30, s30, 1
	s_delay_alu instid0(SALU_CYCLE_1)
	s_cmp_eq_u32 s30, s26
	s_cbranch_scc1 .LBB11_42
.LBB11_27:                              ; =>This Loop Header: Depth=1
                                        ;     Child Loop BB11_29 Depth 2
                                        ;     Child Loop BB11_36 Depth 2
	s_lshl_b64 s[36:37], s[30:31], 2
	s_mov_b64 s[38:39], s[14:15]
	s_add_u32 s2, s27, s36
	s_addc_u32 s3, s46, s37
	s_mov_b32 s51, s31
	global_load_b32 v2, v1, s[2:3]
	s_branch .LBB11_29
	.p2align	6
.LBB11_28:                              ;   in Loop: Header=BB11_29 Depth=2
	s_add_i32 s51, s29, 1
	s_mov_b32 s52, 0
	s_cmp_eq_u32 s26, s51
	s_cselect_b32 s38, -1, 0
	s_delay_alu instid0(SALU_CYCLE_1)
	s_and_not1_b32 vcc_lo, exec_lo, s38
	s_mov_b64 s[38:39], s[2:3]
	s_cbranch_vccz .LBB11_31
.LBB11_29:                              ;   Parent Loop BB11_27 Depth=1
                                        ; =>  This Inner Loop Header: Depth=2
	global_load_b32 v4, v1, s[38:39]
	s_add_u32 s2, s38, 4
	s_addc_u32 s3, s39, 0
	s_mov_b32 s29, s51
	s_waitcnt vmcnt(0)
	v_cmp_neq_f32_e32 vcc_lo, v2, v4
	s_cbranch_vccnz .LBB11_28
; %bb.30:                               ;   in Loop: Header=BB11_27 Depth=1
	s_mov_b32 s52, -1
                                        ; implicit-def: $sgpr51
	s_mov_b64 s[38:39], s[2:3]
.LBB11_31:                              ;   in Loop: Header=BB11_27 Depth=1
	s_and_b32 vcc_lo, exec_lo, s52
	s_cbranch_vccz .LBB11_26
; %bb.32:                               ;   in Loop: Header=BB11_27 Depth=1
	v_mov_b32_e32 v5, s23
	s_cmp_eq_u32 s29, s4
	s_cbranch_scc1 .LBB11_34
; %bb.33:                               ;   in Loop: Header=BB11_27 Depth=1
	global_load_b32 v5, v1, s[2:3]
.LBB11_34:                              ;   in Loop: Header=BB11_27 Depth=1
	s_clause 0x1
	global_load_b32 v6, v1, s[24:25] offset:-4
	global_load_b32 v3, v1, s[20:21] offset:8
	s_waitcnt vmcnt(2)
	v_sub_f32_e32 v4, v5, v4
	s_and_not1_b32 vcc_lo, exec_lo, s22
	s_delay_alu instid0(VALU_DEP_1) | instskip(SKIP_1) | instid1(VALU_DEP_1)
	v_fma_f32 v4, 0.5, v4, v2
	s_waitcnt vmcnt(1)
	v_sub_f32_e32 v5, v6, v4
	s_waitcnt vmcnt(0)
	s_delay_alu instid0(VALU_DEP_1) | instskip(NEXT) | instid1(VALU_DEP_1)
	v_cmp_le_f32_e64 s2, v5, v3
	v_cndmask_b32_e64 v6, 0, 1, s2
	s_delay_alu instid0(VALU_DEP_1)
	v_readfirstlane_b32 s29, v6
	s_cbranch_vccnz .LBB11_37
; %bb.35:                               ;   in Loop: Header=BB11_27 Depth=1
	v_cmp_gt_f32_e64 s3, v5, -v3
	s_mov_b32 s38, s45
	s_delay_alu instid0(VALU_DEP_1) | instskip(NEXT) | instid1(SALU_CYCLE_1)
	s_and_b32 s2, s2, s3
	v_cndmask_b32_e64 v5, v5, -v3, s2
	s_mov_b64 s[2:3], s[34:35]
	s_set_inst_prefetch_distance 0x1
	.p2align	6
.LBB11_36:                              ;   Parent Loop BB11_27 Depth=1
                                        ; =>  This Inner Loop Header: Depth=2
	s_add_u32 s52, s2, s12
	s_addc_u32 s53, s3, s13
	s_clause 0x1
	global_load_b32 v6, v1, s[2:3]
	global_load_b32 v7, v1, s[52:53]
	s_waitcnt vmcnt(1)
	v_div_scale_f32 v8, null, v5, v5, v6
	v_div_scale_f32 v11, vcc_lo, v6, v5, v6
	s_waitcnt vmcnt(0)
	v_sub_f32_e32 v7, v7, v4
	s_delay_alu instid0(VALU_DEP_3) | instskip(SKIP_2) | instid1(VALU_DEP_1)
	v_rcp_f32_e32 v9, v8
	s_waitcnt_depctr 0xfff
	v_fma_f32 v10, -v8, v9, 1.0
	v_fmac_f32_e32 v9, v10, v9
	s_delay_alu instid0(VALU_DEP_1) | instskip(NEXT) | instid1(VALU_DEP_1)
	v_mul_f32_e32 v10, v11, v9
	v_fma_f32 v12, -v8, v10, v11
	s_delay_alu instid0(VALU_DEP_1) | instskip(NEXT) | instid1(VALU_DEP_1)
	v_fmac_f32_e32 v10, v12, v9
	v_fma_f32 v8, -v8, v10, v11
	s_delay_alu instid0(VALU_DEP_1) | instskip(NEXT) | instid1(VALU_DEP_1)
	v_div_fmas_f32 v8, v8, v9, v10
	v_div_fixup_f32 v5, v8, v5, v6
	s_delay_alu instid0(VALU_DEP_1) | instskip(NEXT) | instid1(VALU_DEP_1)
	v_sub_f32_e32 v5, v7, v5
	v_cmp_le_f32_e32 vcc_lo, v5, v3
	v_cmp_gt_f32_e64 s39, v5, -v3
	s_delay_alu instid0(VALU_DEP_1)
	s_and_b32 s39, vcc_lo, s39
	s_cmp_lg_u32 vcc_lo, 0
	v_cndmask_b32_e64 v5, v5, -v3, s39
	s_addc_u32 s29, s29, 0
	s_add_i32 s38, s38, -1
	s_add_u32 s2, s2, 4
	s_addc_u32 s3, s3, 0
	s_cmp_lg_u32 s38, 0
	s_cbranch_scc1 .LBB11_36
.LBB11_37:                              ;   in Loop: Header=BB11_27 Depth=1
	s_set_inst_prefetch_distance 0x2
	s_delay_alu instid0(VALU_DEP_1) | instskip(SKIP_3) | instid1(SALU_CYCLE_1)
	s_cmp_lt_i32 s29, s6
	s_cselect_b32 s2, -1, 0
	s_cmp_gt_i32 s29, s7
	s_cselect_b32 s3, -1, 0
	s_or_b32 s2, s2, s3
	s_mov_b32 s3, -1
	s_and_b32 vcc_lo, exec_lo, s2
                                        ; implicit-def: $sgpr2
	s_cbranch_vccnz .LBB11_39
; %bb.38:                               ;   in Loop: Header=BB11_27 Depth=1
	s_ashr_i32 s29, s28, 31
	s_delay_alu instid0(SALU_CYCLE_1) | instskip(NEXT) | instid1(SALU_CYCLE_1)
	s_lshl_b64 s[2:3], s[28:29], 2
	s_add_u32 s38, s40, s2
	s_addc_u32 s39, s41, s3
	s_add_i32 s2, s28, 1
	s_mov_b32 s3, 0
	global_store_b32 v1, v2, s[38:39]
.LBB11_39:                              ;   in Loop: Header=BB11_27 Depth=1
	s_and_not1_b32 vcc_lo, exec_lo, s3
	s_cbranch_vccnz .LBB11_25
; %bb.40:                               ;   in Loop: Header=BB11_27 Depth=1
	s_add_u32 s2, s47, s36
	s_addc_u32 s3, s48, s37
	global_load_b32 v2, v1, s[2:3]
	s_mov_b32 s2, s28
	s_waitcnt vmcnt(0)
	v_ashrrev_i32_e32 v3, 31, v2
	s_delay_alu instid0(VALU_DEP_1) | instskip(NEXT) | instid1(VALU_DEP_1)
	v_lshlrev_b64 v[2:3], 2, v[2:3]
	v_add_co_u32 v2, vcc_lo, s49, v2
	s_delay_alu instid0(VALU_DEP_2)
	v_add_co_ci_u32_e32 v3, vcc_lo, s50, v3, vcc_lo
	global_store_b32 v[2:3], v1, off
	s_branch .LBB11_25
.LBB11_41:
	s_mov_b32 s28, 0
.LBB11_42:
	s_delay_alu instid0(SALU_CYCLE_1)
	v_dual_mov_b32 v1, 0 :: v_dual_mov_b32 v2, s28
	global_store_b32 v1, v2, s[8:9]
.LBB11_43:
	s_or_b32 exec_lo, exec_lo, s44
	s_cmp_lt_i32 s5, 1
	s_waitcnt lgkmcnt(0)
	s_waitcnt_vscnt null, 0x0
	s_barrier
	buffer_gl0_inv
	s_cbranch_scc1 .LBB11_51
; %bb.44:
	s_clause 0x1
	s_load_b64 s[6:7], s[0:1], 0x48
	s_load_b32 s1, s[0:1], 0x40
	v_cmp_le_i32_e32 vcc_lo, s5, v0
	v_dual_mov_b32 v6, 0 :: v_dual_mov_b32 v1, v0
	s_mov_b32 s3, 0
	s_delay_alu instid0(SALU_CYCLE_1)
	s_mov_b32 s15, s3
	s_waitcnt lgkmcnt(0)
	s_mul_i32 s0, s18, s7
	s_mul_hi_u32 s2, s18, s6
	s_mul_i32 s4, s19, s6
	s_add_i32 s0, s2, s0
	s_mul_i32 s6, s18, s6
	s_add_i32 s7, s0, s4
	s_mov_b32 s2, s3
	s_lshl_b64 s[6:7], s[6:7], 2
	s_delay_alu instid0(SALU_CYCLE_1)
	s_add_u32 s6, s10, s6
	s_addc_u32 s7, s11, s7
	s_add_u32 s4, s42, 8
	s_addc_u32 s12, s43, 0
	s_lshl_b32 s13, s33, 2
	s_xor_b32 s14, vcc_lo, -1
	s_branch .LBB11_47
.LBB11_45:                              ;   in Loop: Header=BB11_47 Depth=1
	s_or_b32 exec_lo, exec_lo, s18
	s_add_i32 s15, s15, 1
.LBB11_46:                              ;   in Loop: Header=BB11_47 Depth=1
	v_add_nc_u32_e32 v1, s1, v1
	s_add_i32 s2, s2, 1
	s_waitcnt_vscnt null, 0x0
	s_cmp_lg_u32 s2, s5
	s_barrier
	buffer_gl0_inv
	s_cbranch_scc0 .LBB11_51
.LBB11_47:                              ; =>This Loop Header: Depth=1
                                        ;     Child Loop BB11_50 Depth 2
	s_lshl_b64 s[10:11], s[2:3], 2
	s_delay_alu instid0(SALU_CYCLE_1)
	s_add_u32 s10, s4, s10
	s_addc_u32 s11, s12, s11
	global_load_b32 v2, v6, s[10:11]
	s_waitcnt vmcnt(0)
	v_cmp_ne_u32_e32 vcc_lo, 1, v2
	s_cbranch_vccnz .LBB11_46
; %bb.48:                               ;   in Loop: Header=BB11_47 Depth=1
	s_cmp_lg_u32 s2, s15
	s_cselect_b32 s0, -1, 0
	s_delay_alu instid0(SALU_CYCLE_1) | instskip(NEXT) | instid1(SALU_CYCLE_1)
	s_and_b32 s0, s0, s14
	s_and_saveexec_b32 s18, s0
	s_cbranch_execz .LBB11_45
; %bb.49:                               ;   in Loop: Header=BB11_47 Depth=1
	v_mad_u64_u32 v[4:5], null, s15, s1, v[0:1]
	v_ashrrev_i32_e32 v2, 31, v1
	v_mov_b32_e32 v7, v0
	s_mov_b32 s19, 0
	s_mov_b64 s[10:11], s[6:7]
	s_delay_alu instid0(VALU_DEP_2) | instskip(NEXT) | instid1(VALU_DEP_4)
	v_lshlrev_b64 v[2:3], 2, v[1:2]
	v_ashrrev_i32_e32 v5, 31, v4
	s_delay_alu instid0(VALU_DEP_1)
	v_lshlrev_b64 v[4:5], 2, v[4:5]
	.p2align	6
.LBB11_50:                              ;   Parent Loop BB11_47 Depth=1
                                        ; =>  This Inner Loop Header: Depth=2
	s_delay_alu instid0(VALU_DEP_3) | instskip(NEXT) | instid1(VALU_DEP_4)
	v_add_co_u32 v8, vcc_lo, s10, v2
	v_add_co_ci_u32_e32 v9, vcc_lo, s11, v3, vcc_lo
	v_add_nc_u32_e32 v7, s33, v7
	global_load_b32 v10, v[8:9], off
	v_add_co_u32 v8, vcc_lo, s10, v4
	v_cmp_le_i32_e64 s0, s5, v7
	v_add_co_ci_u32_e32 v9, vcc_lo, s11, v5, vcc_lo
	s_add_u32 s10, s10, s13
	s_addc_u32 s11, s11, 0
	s_delay_alu instid0(VALU_DEP_2)
	s_or_b32 s19, s0, s19
	s_waitcnt vmcnt(0)
	global_store_b32 v[8:9], v10, off
	s_and_not1_b32 exec_lo, exec_lo, s19
	s_cbranch_execnz .LBB11_50
	s_branch .LBB11_45
.LBB11_51:
	s_mov_b32 s2, 0
.LBB11_52:
	s_delay_alu instid0(SALU_CYCLE_1)
	s_and_b32 vcc_lo, exec_lo, s2
	s_cbranch_vccz .LBB11_56
; %bb.53:
	v_dual_mov_b32 v1, 0 :: v_dual_mov_b32 v2, s5
	s_mov_b32 s0, exec_lo
	global_store_b32 v1, v2, s[8:9]
	v_cmpx_gt_i32_e64 s5, v0
	s_cbranch_execz .LBB11_56
; %bb.54:
	v_lshlrev_b32_e32 v2, 2, v0
	s_mov_b32 s1, 0
	s_lshl_b32 s2, s33, 2
	.p2align	6
.LBB11_55:                              ; =>This Inner Loop Header: Depth=1
	s_delay_alu instid0(VALU_DEP_1)
	v_add_co_u32 v3, vcc_lo, s16, v2
	v_add_co_ci_u32_e32 v4, vcc_lo, s17, v1, vcc_lo
	v_add_nc_u32_e32 v0, s33, v0
	global_load_b32 v5, v[3:4], off
	v_add_co_u32 v3, vcc_lo, s40, v2
	v_add_co_ci_u32_e32 v4, vcc_lo, s41, v1, vcc_lo
	v_cmp_le_i32_e32 vcc_lo, s5, v0
	v_add_co_u32 v2, s0, v2, s2
	s_delay_alu instid0(VALU_DEP_1)
	v_add_co_ci_u32_e64 v1, s0, 0, v1, s0
	s_or_b32 s1, vcc_lo, s1
	s_waitcnt vmcnt(0)
	global_store_b32 v[3:4], v5, off
	s_and_not1_b32 exec_lo, exec_lo, s1
	s_cbranch_execnz .LBB11_55
.LBB11_56:
	s_nop 0
	s_sendmsg sendmsg(MSG_DEALLOC_VGPRS)
	s_endpgm
	.section	.rodata,"a",@progbits
	.p2align	6, 0x0
	.amdhsa_kernel _ZN9rocsolver6v33100L23stedcx_synthesis_kernelIfEEv15rocblas_erange_iiiPT_lPiS4_lS4_iliS5_S4_S3_
		.amdhsa_group_segment_fixed_size 0
		.amdhsa_private_segment_fixed_size 0
		.amdhsa_kernarg_size 368
		.amdhsa_user_sgpr_count 14
		.amdhsa_user_sgpr_dispatch_ptr 0
		.amdhsa_user_sgpr_queue_ptr 0
		.amdhsa_user_sgpr_kernarg_segment_ptr 1
		.amdhsa_user_sgpr_dispatch_id 0
		.amdhsa_user_sgpr_private_segment_size 0
		.amdhsa_wavefront_size32 1
		.amdhsa_uses_dynamic_stack 0
		.amdhsa_enable_private_segment 0
		.amdhsa_system_sgpr_workgroup_id_x 1
		.amdhsa_system_sgpr_workgroup_id_y 1
		.amdhsa_system_sgpr_workgroup_id_z 0
		.amdhsa_system_sgpr_workgroup_info 0
		.amdhsa_system_vgpr_workitem_id 0
		.amdhsa_next_free_vgpr 13
		.amdhsa_next_free_sgpr 54
		.amdhsa_reserve_vcc 1
		.amdhsa_float_round_mode_32 0
		.amdhsa_float_round_mode_16_64 0
		.amdhsa_float_denorm_mode_32 3
		.amdhsa_float_denorm_mode_16_64 3
		.amdhsa_dx10_clamp 1
		.amdhsa_ieee_mode 1
		.amdhsa_fp16_overflow 0
		.amdhsa_workgroup_processor_mode 1
		.amdhsa_memory_ordered 1
		.amdhsa_forward_progress 0
		.amdhsa_shared_vgpr_count 0
		.amdhsa_exception_fp_ieee_invalid_op 0
		.amdhsa_exception_fp_denorm_src 0
		.amdhsa_exception_fp_ieee_div_zero 0
		.amdhsa_exception_fp_ieee_overflow 0
		.amdhsa_exception_fp_ieee_underflow 0
		.amdhsa_exception_fp_ieee_inexact 0
		.amdhsa_exception_int_div_zero 0
	.end_amdhsa_kernel
	.section	.text._ZN9rocsolver6v33100L23stedcx_synthesis_kernelIfEEv15rocblas_erange_iiiPT_lPiS4_lS4_iliS5_S4_S3_,"axG",@progbits,_ZN9rocsolver6v33100L23stedcx_synthesis_kernelIfEEv15rocblas_erange_iiiPT_lPiS4_lS4_iliS5_S4_S3_,comdat
.Lfunc_end11:
	.size	_ZN9rocsolver6v33100L23stedcx_synthesis_kernelIfEEv15rocblas_erange_iiiPT_lPiS4_lS4_iliS5_S4_S3_, .Lfunc_end11-_ZN9rocsolver6v33100L23stedcx_synthesis_kernelIfEEv15rocblas_erange_iiiPT_lPiS4_lS4_iliS5_S4_S3_
                                        ; -- End function
	.section	.AMDGPU.csdata,"",@progbits
; Kernel info:
; codeLenInByte = 2380
; NumSgprs: 56
; NumVgprs: 13
; ScratchSize: 0
; MemoryBound: 0
; FloatMode: 240
; IeeeMode: 1
; LDSByteSize: 0 bytes/workgroup (compile time only)
; SGPRBlocks: 6
; VGPRBlocks: 1
; NumSGPRsForWavesPerEU: 56
; NumVGPRsForWavesPerEU: 13
; Occupancy: 16
; WaveLimiterHint : 1
; COMPUTE_PGM_RSRC2:SCRATCH_EN: 0
; COMPUTE_PGM_RSRC2:USER_SGPR: 14
; COMPUTE_PGM_RSRC2:TRAP_HANDLER: 0
; COMPUTE_PGM_RSRC2:TGID_X_EN: 1
; COMPUTE_PGM_RSRC2:TGID_Y_EN: 1
; COMPUTE_PGM_RSRC2:TGID_Z_EN: 0
; COMPUTE_PGM_RSRC2:TIDIG_COMP_CNT: 0
	.section	.text._ZN9rocsolver6v33100L8copy_matIfPfNS0_7no_maskEEEvNS0_17copymat_directionEiiT0_iilPT_T1_13rocblas_fill_17rocblas_diagonal_,"axG",@progbits,_ZN9rocsolver6v33100L8copy_matIfPfNS0_7no_maskEEEvNS0_17copymat_directionEiiT0_iilPT_T1_13rocblas_fill_17rocblas_diagonal_,comdat
	.globl	_ZN9rocsolver6v33100L8copy_matIfPfNS0_7no_maskEEEvNS0_17copymat_directionEiiT0_iilPT_T1_13rocblas_fill_17rocblas_diagonal_ ; -- Begin function _ZN9rocsolver6v33100L8copy_matIfPfNS0_7no_maskEEEvNS0_17copymat_directionEiiT0_iilPT_T1_13rocblas_fill_17rocblas_diagonal_
	.p2align	8
	.type	_ZN9rocsolver6v33100L8copy_matIfPfNS0_7no_maskEEEvNS0_17copymat_directionEiiT0_iilPT_T1_13rocblas_fill_17rocblas_diagonal_,@function
_ZN9rocsolver6v33100L8copy_matIfPfNS0_7no_maskEEEvNS0_17copymat_directionEiiT0_iilPT_T1_13rocblas_fill_17rocblas_diagonal_: ; @_ZN9rocsolver6v33100L8copy_matIfPfNS0_7no_maskEEEvNS0_17copymat_directionEiiT0_iilPT_T1_13rocblas_fill_17rocblas_diagonal_
; %bb.0:
	s_clause 0x1
	s_load_b32 s2, s[0:1], 0x4c
	s_load_b128 s[8:11], s[0:1], 0x0
	v_and_b32_e32 v2, 0x3ff, v0
	v_bfe_u32 v3, v0, 10, 10
	s_waitcnt lgkmcnt(0)
	s_lshr_b32 s3, s2, 16
	s_and_b32 s2, s2, 0xffff
	s_delay_alu instid0(VALU_DEP_1) | instid1(SALU_CYCLE_1)
	v_mad_u64_u32 v[0:1], null, s13, s2, v[2:3]
	v_mad_u64_u32 v[1:2], null, s14, s3, v[3:4]
	s_delay_alu instid0(VALU_DEP_2) | instskip(NEXT) | instid1(VALU_DEP_2)
	v_cmp_gt_u32_e32 vcc_lo, s9, v0
	v_cmp_gt_u32_e64 s2, s10, v1
	s_delay_alu instid0(VALU_DEP_1) | instskip(NEXT) | instid1(SALU_CYCLE_1)
	s_and_b32 s2, s2, vcc_lo
	s_and_saveexec_b32 s3, s2
	s_cbranch_execz .LBB12_14
; %bb.1:
	s_load_b64 s[4:5], s[0:1], 0x34
	s_waitcnt lgkmcnt(0)
	s_cmpk_lt_i32 s4, 0x7a
	s_cbranch_scc1 .LBB12_4
; %bb.2:
	s_cmpk_gt_i32 s4, 0x7a
	s_cbranch_scc0 .LBB12_5
; %bb.3:
	s_cmpk_lg_i32 s4, 0x7b
	s_mov_b32 s3, -1
	s_cselect_b32 s6, -1, 0
	s_cbranch_execz .LBB12_6
	s_branch .LBB12_7
.LBB12_4:
	s_mov_b32 s6, 0
	s_mov_b32 s3, 0
	s_cbranch_execnz .LBB12_8
	s_branch .LBB12_10
.LBB12_5:
	s_mov_b32 s3, 0
	s_mov_b32 s6, 0
.LBB12_6:
	v_cmp_gt_u32_e32 vcc_lo, v0, v1
	v_cmp_le_u32_e64 s2, v0, v1
	s_and_not1_b32 s3, s3, exec_lo
	s_and_not1_b32 s6, s6, exec_lo
	s_and_b32 s7, vcc_lo, exec_lo
	s_delay_alu instid0(VALU_DEP_1)
	s_and_b32 s2, s2, exec_lo
	s_or_b32 s3, s3, s7
	s_or_b32 s6, s6, s2
.LBB12_7:
	s_branch .LBB12_10
.LBB12_8:
	s_cmpk_eq_i32 s4, 0x79
	s_mov_b32 s6, -1
	s_cbranch_scc0 .LBB12_10
; %bb.9:
	v_cmp_gt_u32_e32 vcc_lo, v1, v0
	v_cmp_le_u32_e64 s2, v1, v0
	s_and_not1_b32 s3, s3, exec_lo
	s_and_b32 s4, vcc_lo, exec_lo
	s_delay_alu instid0(VALU_DEP_1)
	s_or_not1_b32 s6, s2, exec_lo
	s_or_b32 s3, s3, s4
.LBB12_10:
	s_and_saveexec_b32 s2, s6
; %bb.11:
	v_cmp_eq_u32_e32 vcc_lo, v0, v1
	s_cmpk_eq_i32 s5, 0x83
	s_cselect_b32 s4, -1, 0
	s_and_not1_b32 s3, s3, exec_lo
	s_and_b32 s4, s4, vcc_lo
	s_delay_alu instid0(SALU_CYCLE_1) | instskip(NEXT) | instid1(SALU_CYCLE_1)
	s_and_b32 s4, s4, exec_lo
	s_or_b32 s3, s3, s4
; %bb.12:
	s_or_b32 exec_lo, exec_lo, s2
	s_delay_alu instid0(SALU_CYCLE_1)
	s_and_b32 exec_lo, exec_lo, s3
	s_cbranch_execz .LBB12_14
; %bb.13:
	s_load_b256 s[0:7], s[0:1], 0x10
	s_ashr_i32 s12, s10, 31
	s_mul_i32 s16, s9, s15
	s_ashr_i32 s11, s9, 31
	s_mul_i32 s17, s16, s12
	s_mul_hi_u32 s14, s9, s15
	s_mul_i32 s11, s11, s15
	s_waitcnt lgkmcnt(0)
	s_mul_i32 s5, s15, s5
	s_mul_hi_u32 s12, s15, s4
	s_mul_i32 s4, s15, s4
	s_add_i32 s5, s12, s5
	s_ashr_i32 s13, s2, 31
	s_lshl_b64 s[4:5], s[4:5], 2
	s_mov_b32 s12, s2
	s_add_u32 s2, s0, s4
	s_addc_u32 s4, s1, s5
	s_lshl_b64 s[0:1], s[12:13], 2
	s_mul_hi_u32 s5, s16, s10
	s_add_u32 s2, s2, s0
	s_addc_u32 s4, s4, s1
	s_add_i32 s0, s14, s11
	s_add_i32 s1, s5, s17
	s_mul_i32 s5, s0, s10
	s_mul_i32 s0, s16, s10
	s_add_i32 s1, s1, s5
	s_delay_alu instid0(SALU_CYCLE_1) | instskip(NEXT) | instid1(SALU_CYCLE_1)
	s_lshl_b64 s[0:1], s[0:1], 2
	s_add_u32 s0, s6, s0
	s_addc_u32 s1, s7, s1
	s_cmp_eq_u32 s8, 0
	s_cselect_b32 s5, s3, s9
	s_cselect_b32 s6, s2, s0
	v_mad_u64_u32 v[2:3], null, v1, s5, v[0:1]
	v_mov_b32_e32 v3, 0
	s_cselect_b32 s5, s4, s1
	s_cselect_b32 s3, s9, s3
	;; [unrolled: 1-line block ×4, first 2 shown]
	s_delay_alu instid0(VALU_DEP_2) | instskip(NEXT) | instid1(VALU_DEP_1)
	v_lshlrev_b64 v[4:5], 2, v[2:3]
	v_add_co_u32 v4, vcc_lo, s6, v4
	s_delay_alu instid0(VALU_DEP_2) | instskip(SKIP_3) | instid1(VALU_DEP_1)
	v_add_co_ci_u32_e32 v5, vcc_lo, s5, v5, vcc_lo
	global_load_b32 v2, v[4:5], off
	v_mad_u64_u32 v[4:5], null, v1, s3, v[0:1]
	v_mov_b32_e32 v5, v3
	v_lshlrev_b64 v[0:1], 2, v[4:5]
	s_delay_alu instid0(VALU_DEP_1) | instskip(NEXT) | instid1(VALU_DEP_2)
	v_add_co_u32 v0, vcc_lo, s0, v0
	v_add_co_ci_u32_e32 v1, vcc_lo, s1, v1, vcc_lo
	s_waitcnt vmcnt(0)
	global_store_b32 v[0:1], v2, off
.LBB12_14:
	s_nop 0
	s_sendmsg sendmsg(MSG_DEALLOC_VGPRS)
	s_endpgm
	.section	.rodata,"a",@progbits
	.p2align	6, 0x0
	.amdhsa_kernel _ZN9rocsolver6v33100L8copy_matIfPfNS0_7no_maskEEEvNS0_17copymat_directionEiiT0_iilPT_T1_13rocblas_fill_17rocblas_diagonal_
		.amdhsa_group_segment_fixed_size 0
		.amdhsa_private_segment_fixed_size 0
		.amdhsa_kernarg_size 320
		.amdhsa_user_sgpr_count 13
		.amdhsa_user_sgpr_dispatch_ptr 0
		.amdhsa_user_sgpr_queue_ptr 0
		.amdhsa_user_sgpr_kernarg_segment_ptr 1
		.amdhsa_user_sgpr_dispatch_id 0
		.amdhsa_user_sgpr_private_segment_size 0
		.amdhsa_wavefront_size32 1
		.amdhsa_uses_dynamic_stack 0
		.amdhsa_enable_private_segment 0
		.amdhsa_system_sgpr_workgroup_id_x 1
		.amdhsa_system_sgpr_workgroup_id_y 1
		.amdhsa_system_sgpr_workgroup_id_z 1
		.amdhsa_system_sgpr_workgroup_info 0
		.amdhsa_system_vgpr_workitem_id 1
		.amdhsa_next_free_vgpr 6
		.amdhsa_next_free_sgpr 18
		.amdhsa_reserve_vcc 1
		.amdhsa_float_round_mode_32 0
		.amdhsa_float_round_mode_16_64 0
		.amdhsa_float_denorm_mode_32 3
		.amdhsa_float_denorm_mode_16_64 3
		.amdhsa_dx10_clamp 1
		.amdhsa_ieee_mode 1
		.amdhsa_fp16_overflow 0
		.amdhsa_workgroup_processor_mode 1
		.amdhsa_memory_ordered 1
		.amdhsa_forward_progress 0
		.amdhsa_shared_vgpr_count 0
		.amdhsa_exception_fp_ieee_invalid_op 0
		.amdhsa_exception_fp_denorm_src 0
		.amdhsa_exception_fp_ieee_div_zero 0
		.amdhsa_exception_fp_ieee_overflow 0
		.amdhsa_exception_fp_ieee_underflow 0
		.amdhsa_exception_fp_ieee_inexact 0
		.amdhsa_exception_int_div_zero 0
	.end_amdhsa_kernel
	.section	.text._ZN9rocsolver6v33100L8copy_matIfPfNS0_7no_maskEEEvNS0_17copymat_directionEiiT0_iilPT_T1_13rocblas_fill_17rocblas_diagonal_,"axG",@progbits,_ZN9rocsolver6v33100L8copy_matIfPfNS0_7no_maskEEEvNS0_17copymat_directionEiiT0_iilPT_T1_13rocblas_fill_17rocblas_diagonal_,comdat
.Lfunc_end12:
	.size	_ZN9rocsolver6v33100L8copy_matIfPfNS0_7no_maskEEEvNS0_17copymat_directionEiiT0_iilPT_T1_13rocblas_fill_17rocblas_diagonal_, .Lfunc_end12-_ZN9rocsolver6v33100L8copy_matIfPfNS0_7no_maskEEEvNS0_17copymat_directionEiiT0_iilPT_T1_13rocblas_fill_17rocblas_diagonal_
                                        ; -- End function
	.section	.AMDGPU.csdata,"",@progbits
; Kernel info:
; codeLenInByte = 576
; NumSgprs: 20
; NumVgprs: 6
; ScratchSize: 0
; MemoryBound: 0
; FloatMode: 240
; IeeeMode: 1
; LDSByteSize: 0 bytes/workgroup (compile time only)
; SGPRBlocks: 2
; VGPRBlocks: 0
; NumSGPRsForWavesPerEU: 20
; NumVGPRsForWavesPerEU: 6
; Occupancy: 16
; WaveLimiterHint : 0
; COMPUTE_PGM_RSRC2:SCRATCH_EN: 0
; COMPUTE_PGM_RSRC2:USER_SGPR: 13
; COMPUTE_PGM_RSRC2:TRAP_HANDLER: 0
; COMPUTE_PGM_RSRC2:TGID_X_EN: 1
; COMPUTE_PGM_RSRC2:TGID_Y_EN: 1
; COMPUTE_PGM_RSRC2:TGID_Z_EN: 1
; COMPUTE_PGM_RSRC2:TIDIG_COMP_CNT: 1
	.text
	.p2align	2                               ; -- Begin function __ockl_fprintf_append_string_n
	.type	__ockl_fprintf_append_string_n,@function
__ockl_fprintf_append_string_n:         ; @__ockl_fprintf_append_string_n
; %bb.0:
	s_waitcnt vmcnt(0) expcnt(0) lgkmcnt(0)
	v_dual_mov_b32 v8, v3 :: v_dual_mov_b32 v7, v2
	v_or_b32_e32 v2, 2, v0
	v_cmp_eq_u32_e32 vcc_lo, 0, v6
	v_mbcnt_lo_u32_b32 v33, -1, 0
	s_mov_b32 s11, 0
	s_mov_b32 s0, exec_lo
	v_cndmask_b32_e32 v0, v2, v0, vcc_lo
	v_cmpx_ne_u64_e32 0, v[7:8]
	s_xor_b32 s10, exec_lo, s0
	s_cbranch_execz .LBB13_86
; %bb.1:
	s_load_b64 s[2:3], s[8:9], 0x50
	v_dual_mov_b32 v11, 2 :: v_dual_and_b32 v6, 2, v0
	v_mov_b32_e32 v10, 0
	v_and_b32_e32 v0, -3, v0
	v_mov_b32_e32 v12, 1
	s_mov_b32 s12, 0
	s_branch .LBB13_3
.LBB13_2:                               ;   in Loop: Header=BB13_3 Depth=1
	s_or_b32 exec_lo, exec_lo, s1
	v_sub_co_u32 v4, vcc_lo, v4, v29
	v_sub_co_ci_u32_e32 v5, vcc_lo, v5, v30, vcc_lo
	v_add_co_u32 v7, s0, v7, v29
	s_delay_alu instid0(VALU_DEP_1) | instskip(NEXT) | instid1(VALU_DEP_3)
	v_add_co_ci_u32_e64 v8, s0, v8, v30, s0
	v_cmp_eq_u64_e32 vcc_lo, 0, v[4:5]
	s_or_b32 s12, vcc_lo, s12
	s_delay_alu instid0(SALU_CYCLE_1)
	s_and_not1_b32 exec_lo, exec_lo, s12
	s_cbranch_execz .LBB13_85
.LBB13_3:                               ; =>This Loop Header: Depth=1
                                        ;     Child Loop BB13_6 Depth 2
                                        ;     Child Loop BB13_14 Depth 2
	;; [unrolled: 1-line block ×11, first 2 shown]
	v_cmp_gt_u64_e32 vcc_lo, 56, v[4:5]
	s_mov_b32 s1, exec_lo
                                        ; implicit-def: $vgpr2_vgpr3
                                        ; implicit-def: $sgpr4
	v_dual_cndmask_b32 v30, 0, v5 :: v_dual_cndmask_b32 v29, 56, v4
	v_cmpx_gt_u64_e32 8, v[4:5]
	s_xor_b32 s1, exec_lo, s1
	s_cbranch_execz .LBB13_9
; %bb.4:                                ;   in Loop: Header=BB13_3 Depth=1
	s_waitcnt vmcnt(0)
	v_mov_b32_e32 v2, 0
	v_mov_b32_e32 v3, 0
	s_mov_b64 s[4:5], 0
	s_mov_b32 s6, exec_lo
	v_cmpx_ne_u64_e32 0, v[4:5]
	s_cbranch_execz .LBB13_8
; %bb.5:                                ;   in Loop: Header=BB13_3 Depth=1
	v_lshlrev_b64 v[13:14], 3, v[29:30]
	v_dual_mov_b32 v2, 0 :: v_dual_mov_b32 v15, v8
	v_dual_mov_b32 v3, 0 :: v_dual_mov_b32 v14, v7
	s_mov_b32 s7, 0
	.p2align	6
.LBB13_6:                               ;   Parent Loop BB13_3 Depth=1
                                        ; =>  This Inner Loop Header: Depth=2
	flat_load_u8 v9, v[14:15]
	v_mov_b32_e32 v17, s11
	v_add_co_u32 v14, vcc_lo, v14, 1
	v_add_co_ci_u32_e32 v15, vcc_lo, 0, v15, vcc_lo
	s_waitcnt vmcnt(0) lgkmcnt(0)
	v_and_b32_e32 v16, 0xffff, v9
	s_delay_alu instid0(VALU_DEP_1) | instskip(SKIP_3) | instid1(VALU_DEP_2)
	v_lshlrev_b64 v[16:17], s4, v[16:17]
	s_add_u32 s4, s4, 8
	s_addc_u32 s5, s5, 0
	v_cmp_eq_u32_e64 s0, s4, v13
	v_or_b32_e32 v3, v17, v3
	s_delay_alu instid0(VALU_DEP_3) | instskip(NEXT) | instid1(VALU_DEP_3)
	v_or_b32_e32 v2, v16, v2
	s_or_b32 s7, s0, s7
	s_delay_alu instid0(SALU_CYCLE_1)
	s_and_not1_b32 exec_lo, exec_lo, s7
	s_cbranch_execnz .LBB13_6
; %bb.7:                                ;   in Loop: Header=BB13_3 Depth=1
	s_or_b32 exec_lo, exec_lo, s7
.LBB13_8:                               ;   in Loop: Header=BB13_3 Depth=1
	s_delay_alu instid0(SALU_CYCLE_1)
	s_or_b32 exec_lo, exec_lo, s6
	s_mov_b32 s4, 0
.LBB13_9:                               ;   in Loop: Header=BB13_3 Depth=1
	s_or_saveexec_b32 s0, s1
	v_dual_mov_b32 v9, s4 :: v_dual_mov_b32 v26, v8
	v_mov_b32_e32 v25, v7
	s_xor_b32 exec_lo, exec_lo, s0
	s_cbranch_execz .LBB13_11
; %bb.10:                               ;   in Loop: Header=BB13_3 Depth=1
	s_waitcnt vmcnt(0)
	flat_load_b64 v[2:3], v[7:8]
	v_add_co_u32 v25, vcc_lo, v7, 8
	v_add_co_ci_u32_e32 v26, vcc_lo, 0, v8, vcc_lo
	s_waitcnt vmcnt(0) lgkmcnt(0)
	v_and_b32_e32 v9, 0xff, v3
	v_and_b32_e32 v13, 0xff00, v3
	;; [unrolled: 1-line block ×4, first 2 shown]
	v_or3_b32 v2, v2, 0, 0
	s_delay_alu instid0(VALU_DEP_4) | instskip(SKIP_1) | instid1(VALU_DEP_2)
	v_or_b32_e32 v13, v9, v13
	v_add_nc_u32_e32 v9, -8, v29
	v_or3_b32 v3, v13, v14, v3
.LBB13_11:                              ;   in Loop: Header=BB13_3 Depth=1
	s_or_b32 exec_lo, exec_lo, s0
                                        ; implicit-def: $vgpr13_vgpr14
                                        ; implicit-def: $sgpr1
	s_delay_alu instid0(SALU_CYCLE_1) | instskip(NEXT) | instid1(VALU_DEP_2)
	s_mov_b32 s0, exec_lo
	v_cmpx_gt_u32_e32 8, v9
	s_xor_b32 s6, exec_lo, s0
	s_cbranch_execz .LBB13_17
; %bb.12:                               ;   in Loop: Header=BB13_3 Depth=1
	v_mov_b32_e32 v13, 0
	v_mov_b32_e32 v14, 0
	s_mov_b32 s7, exec_lo
	v_cmpx_ne_u32_e32 0, v9
	s_cbranch_execz .LBB13_16
; %bb.13:                               ;   in Loop: Header=BB13_3 Depth=1
	v_mov_b32_e32 v13, 0
	v_mov_b32_e32 v14, 0
	s_mov_b64 s[0:1], 0
	s_mov_b32 s13, 0
	s_mov_b64 s[4:5], 0
	.p2align	6
.LBB13_14:                              ;   Parent Loop BB13_3 Depth=1
                                        ; =>  This Inner Loop Header: Depth=2
	s_delay_alu instid0(SALU_CYCLE_1)
	v_add_co_u32 v15, vcc_lo, v25, s4
	v_add_co_ci_u32_e32 v16, vcc_lo, s5, v26, vcc_lo
	s_add_u32 s4, s4, 1
	s_addc_u32 s5, s5, 0
	v_cmp_eq_u32_e32 vcc_lo, s4, v9
	flat_load_u8 v15, v[15:16]
	s_waitcnt vmcnt(0) lgkmcnt(0)
	v_dual_mov_b32 v16, s11 :: v_dual_and_b32 v15, 0xffff, v15
	s_delay_alu instid0(VALU_DEP_1) | instskip(SKIP_3) | instid1(VALU_DEP_1)
	v_lshlrev_b64 v[15:16], s0, v[15:16]
	s_add_u32 s0, s0, 8
	s_addc_u32 s1, s1, 0
	s_or_b32 s13, vcc_lo, s13
	v_or_b32_e32 v14, v16, v14
	s_delay_alu instid0(VALU_DEP_2)
	v_or_b32_e32 v13, v15, v13
	s_and_not1_b32 exec_lo, exec_lo, s13
	s_cbranch_execnz .LBB13_14
; %bb.15:                               ;   in Loop: Header=BB13_3 Depth=1
	s_or_b32 exec_lo, exec_lo, s13
.LBB13_16:                              ;   in Loop: Header=BB13_3 Depth=1
	s_delay_alu instid0(SALU_CYCLE_1)
	s_or_b32 exec_lo, exec_lo, s7
	s_mov_b32 s1, 0
                                        ; implicit-def: $vgpr9
.LBB13_17:                              ;   in Loop: Header=BB13_3 Depth=1
	s_or_saveexec_b32 s0, s6
	v_mov_b32_e32 v17, s1
	s_xor_b32 exec_lo, exec_lo, s0
	s_cbranch_execz .LBB13_19
; %bb.18:                               ;   in Loop: Header=BB13_3 Depth=1
	flat_load_b64 v[13:14], v[25:26]
	v_add_co_u32 v25, vcc_lo, v25, 8
	v_add_nc_u32_e32 v17, -8, v9
	v_add_co_ci_u32_e32 v26, vcc_lo, 0, v26, vcc_lo
	s_waitcnt vmcnt(0) lgkmcnt(0)
	v_and_b32_e32 v15, 0xff, v14
	v_and_b32_e32 v16, 0xff00, v14
	;; [unrolled: 1-line block ×4, first 2 shown]
	v_or3_b32 v13, v13, 0, 0
	s_delay_alu instid0(VALU_DEP_4) | instskip(NEXT) | instid1(VALU_DEP_1)
	v_or_b32_e32 v15, v15, v16
	v_or3_b32 v14, v15, v18, v14
.LBB13_19:                              ;   in Loop: Header=BB13_3 Depth=1
	s_or_b32 exec_lo, exec_lo, s0
                                        ; implicit-def: $sgpr1
	s_delay_alu instid0(SALU_CYCLE_1)
	s_mov_b32 s0, exec_lo
	v_cmpx_gt_u32_e32 8, v17
	s_xor_b32 s6, exec_lo, s0
	s_cbranch_execz .LBB13_25
; %bb.20:                               ;   in Loop: Header=BB13_3 Depth=1
	v_mov_b32_e32 v15, 0
	v_mov_b32_e32 v16, 0
	s_mov_b32 s7, exec_lo
	v_cmpx_ne_u32_e32 0, v17
	s_cbranch_execz .LBB13_24
; %bb.21:                               ;   in Loop: Header=BB13_3 Depth=1
	v_mov_b32_e32 v15, 0
	v_mov_b32_e32 v16, 0
	s_mov_b64 s[0:1], 0
	s_mov_b32 s13, 0
	s_mov_b64 s[4:5], 0
	.p2align	6
.LBB13_22:                              ;   Parent Loop BB13_3 Depth=1
                                        ; =>  This Inner Loop Header: Depth=2
	s_delay_alu instid0(SALU_CYCLE_1)
	v_add_co_u32 v18, vcc_lo, v25, s4
	v_add_co_ci_u32_e32 v19, vcc_lo, s5, v26, vcc_lo
	s_add_u32 s4, s4, 1
	s_addc_u32 s5, s5, 0
	v_cmp_eq_u32_e32 vcc_lo, s4, v17
	flat_load_u8 v9, v[18:19]
	s_waitcnt vmcnt(0) lgkmcnt(0)
	v_dual_mov_b32 v19, s11 :: v_dual_and_b32 v18, 0xffff, v9
	s_delay_alu instid0(VALU_DEP_1) | instskip(SKIP_3) | instid1(VALU_DEP_1)
	v_lshlrev_b64 v[18:19], s0, v[18:19]
	s_add_u32 s0, s0, 8
	s_addc_u32 s1, s1, 0
	s_or_b32 s13, vcc_lo, s13
	v_or_b32_e32 v16, v19, v16
	s_delay_alu instid0(VALU_DEP_2)
	v_or_b32_e32 v15, v18, v15
	s_and_not1_b32 exec_lo, exec_lo, s13
	s_cbranch_execnz .LBB13_22
; %bb.23:                               ;   in Loop: Header=BB13_3 Depth=1
	s_or_b32 exec_lo, exec_lo, s13
.LBB13_24:                              ;   in Loop: Header=BB13_3 Depth=1
	s_delay_alu instid0(SALU_CYCLE_1)
	s_or_b32 exec_lo, exec_lo, s7
	s_mov_b32 s1, 0
                                        ; implicit-def: $vgpr17
.LBB13_25:                              ;   in Loop: Header=BB13_3 Depth=1
	s_or_saveexec_b32 s0, s6
	v_mov_b32_e32 v9, s1
	s_xor_b32 exec_lo, exec_lo, s0
	s_cbranch_execz .LBB13_27
; %bb.26:                               ;   in Loop: Header=BB13_3 Depth=1
	flat_load_b64 v[15:16], v[25:26]
	v_add_co_u32 v25, vcc_lo, v25, 8
	v_add_co_ci_u32_e32 v26, vcc_lo, 0, v26, vcc_lo
	s_waitcnt vmcnt(0) lgkmcnt(0)
	v_and_b32_e32 v9, 0xff, v16
	v_and_b32_e32 v18, 0xff00, v16
	;; [unrolled: 1-line block ×4, first 2 shown]
	v_or3_b32 v15, v15, 0, 0
	s_delay_alu instid0(VALU_DEP_4) | instskip(SKIP_1) | instid1(VALU_DEP_2)
	v_or_b32_e32 v18, v9, v18
	v_add_nc_u32_e32 v9, -8, v17
	v_or3_b32 v16, v18, v19, v16
.LBB13_27:                              ;   in Loop: Header=BB13_3 Depth=1
	s_or_b32 exec_lo, exec_lo, s0
                                        ; implicit-def: $vgpr17_vgpr18
                                        ; implicit-def: $sgpr1
	s_delay_alu instid0(SALU_CYCLE_1) | instskip(NEXT) | instid1(VALU_DEP_1)
	s_mov_b32 s0, exec_lo
	v_cmpx_gt_u32_e32 8, v9
	s_xor_b32 s6, exec_lo, s0
	s_cbranch_execz .LBB13_33
; %bb.28:                               ;   in Loop: Header=BB13_3 Depth=1
	v_mov_b32_e32 v17, 0
	v_mov_b32_e32 v18, 0
	s_mov_b32 s7, exec_lo
	v_cmpx_ne_u32_e32 0, v9
	s_cbranch_execz .LBB13_32
; %bb.29:                               ;   in Loop: Header=BB13_3 Depth=1
	v_mov_b32_e32 v17, 0
	v_mov_b32_e32 v18, 0
	s_mov_b64 s[0:1], 0
	s_mov_b32 s13, 0
	s_mov_b64 s[4:5], 0
	.p2align	6
.LBB13_30:                              ;   Parent Loop BB13_3 Depth=1
                                        ; =>  This Inner Loop Header: Depth=2
	s_delay_alu instid0(SALU_CYCLE_1)
	v_add_co_u32 v19, vcc_lo, v25, s4
	v_add_co_ci_u32_e32 v20, vcc_lo, s5, v26, vcc_lo
	s_add_u32 s4, s4, 1
	s_addc_u32 s5, s5, 0
	v_cmp_eq_u32_e32 vcc_lo, s4, v9
	flat_load_u8 v19, v[19:20]
	s_waitcnt vmcnt(0) lgkmcnt(0)
	v_dual_mov_b32 v20, s11 :: v_dual_and_b32 v19, 0xffff, v19
	s_delay_alu instid0(VALU_DEP_1) | instskip(SKIP_3) | instid1(VALU_DEP_1)
	v_lshlrev_b64 v[19:20], s0, v[19:20]
	s_add_u32 s0, s0, 8
	s_addc_u32 s1, s1, 0
	s_or_b32 s13, vcc_lo, s13
	v_or_b32_e32 v18, v20, v18
	s_delay_alu instid0(VALU_DEP_2)
	v_or_b32_e32 v17, v19, v17
	s_and_not1_b32 exec_lo, exec_lo, s13
	s_cbranch_execnz .LBB13_30
; %bb.31:                               ;   in Loop: Header=BB13_3 Depth=1
	s_or_b32 exec_lo, exec_lo, s13
.LBB13_32:                              ;   in Loop: Header=BB13_3 Depth=1
	s_delay_alu instid0(SALU_CYCLE_1)
	s_or_b32 exec_lo, exec_lo, s7
	s_mov_b32 s1, 0
                                        ; implicit-def: $vgpr9
.LBB13_33:                              ;   in Loop: Header=BB13_3 Depth=1
	s_or_saveexec_b32 s0, s6
	v_mov_b32_e32 v21, s1
	s_xor_b32 exec_lo, exec_lo, s0
	s_cbranch_execz .LBB13_35
; %bb.34:                               ;   in Loop: Header=BB13_3 Depth=1
	flat_load_b64 v[17:18], v[25:26]
	v_add_co_u32 v25, vcc_lo, v25, 8
	v_add_nc_u32_e32 v21, -8, v9
	v_add_co_ci_u32_e32 v26, vcc_lo, 0, v26, vcc_lo
	s_waitcnt vmcnt(0) lgkmcnt(0)
	v_and_b32_e32 v19, 0xff, v18
	v_and_b32_e32 v20, 0xff00, v18
	;; [unrolled: 1-line block ×4, first 2 shown]
	v_or3_b32 v17, v17, 0, 0
	s_delay_alu instid0(VALU_DEP_4) | instskip(NEXT) | instid1(VALU_DEP_1)
	v_or_b32_e32 v19, v19, v20
	v_or3_b32 v18, v19, v22, v18
.LBB13_35:                              ;   in Loop: Header=BB13_3 Depth=1
	s_or_b32 exec_lo, exec_lo, s0
                                        ; implicit-def: $sgpr1
	s_delay_alu instid0(SALU_CYCLE_1)
	s_mov_b32 s0, exec_lo
	v_cmpx_gt_u32_e32 8, v21
	s_xor_b32 s6, exec_lo, s0
	s_cbranch_execz .LBB13_41
; %bb.36:                               ;   in Loop: Header=BB13_3 Depth=1
	v_mov_b32_e32 v19, 0
	v_mov_b32_e32 v20, 0
	s_mov_b32 s7, exec_lo
	v_cmpx_ne_u32_e32 0, v21
	s_cbranch_execz .LBB13_40
; %bb.37:                               ;   in Loop: Header=BB13_3 Depth=1
	v_mov_b32_e32 v19, 0
	v_mov_b32_e32 v20, 0
	s_mov_b64 s[0:1], 0
	s_mov_b32 s13, 0
	s_mov_b64 s[4:5], 0
	.p2align	6
.LBB13_38:                              ;   Parent Loop BB13_3 Depth=1
                                        ; =>  This Inner Loop Header: Depth=2
	s_delay_alu instid0(SALU_CYCLE_1)
	v_add_co_u32 v22, vcc_lo, v25, s4
	v_add_co_ci_u32_e32 v23, vcc_lo, s5, v26, vcc_lo
	s_add_u32 s4, s4, 1
	s_addc_u32 s5, s5, 0
	v_cmp_eq_u32_e32 vcc_lo, s4, v21
	flat_load_u8 v9, v[22:23]
	s_waitcnt vmcnt(0) lgkmcnt(0)
	v_dual_mov_b32 v23, s11 :: v_dual_and_b32 v22, 0xffff, v9
	s_delay_alu instid0(VALU_DEP_1) | instskip(SKIP_3) | instid1(VALU_DEP_1)
	v_lshlrev_b64 v[22:23], s0, v[22:23]
	s_add_u32 s0, s0, 8
	s_addc_u32 s1, s1, 0
	s_or_b32 s13, vcc_lo, s13
	v_or_b32_e32 v20, v23, v20
	s_delay_alu instid0(VALU_DEP_2)
	v_or_b32_e32 v19, v22, v19
	s_and_not1_b32 exec_lo, exec_lo, s13
	s_cbranch_execnz .LBB13_38
; %bb.39:                               ;   in Loop: Header=BB13_3 Depth=1
	s_or_b32 exec_lo, exec_lo, s13
.LBB13_40:                              ;   in Loop: Header=BB13_3 Depth=1
	s_delay_alu instid0(SALU_CYCLE_1)
	s_or_b32 exec_lo, exec_lo, s7
	s_mov_b32 s1, 0
                                        ; implicit-def: $vgpr21
.LBB13_41:                              ;   in Loop: Header=BB13_3 Depth=1
	s_or_saveexec_b32 s0, s6
	v_mov_b32_e32 v9, s1
	s_xor_b32 exec_lo, exec_lo, s0
	s_cbranch_execz .LBB13_43
; %bb.42:                               ;   in Loop: Header=BB13_3 Depth=1
	flat_load_b64 v[19:20], v[25:26]
	v_add_co_u32 v25, vcc_lo, v25, 8
	v_add_co_ci_u32_e32 v26, vcc_lo, 0, v26, vcc_lo
	s_waitcnt vmcnt(0) lgkmcnt(0)
	v_and_b32_e32 v9, 0xff, v20
	v_and_b32_e32 v22, 0xff00, v20
	;; [unrolled: 1-line block ×4, first 2 shown]
	v_or3_b32 v19, v19, 0, 0
	s_delay_alu instid0(VALU_DEP_4) | instskip(SKIP_1) | instid1(VALU_DEP_2)
	v_or_b32_e32 v22, v9, v22
	v_add_nc_u32_e32 v9, -8, v21
	v_or3_b32 v20, v22, v23, v20
.LBB13_43:                              ;   in Loop: Header=BB13_3 Depth=1
	s_or_b32 exec_lo, exec_lo, s0
                                        ; implicit-def: $vgpr21_vgpr22
                                        ; implicit-def: $sgpr1
	s_delay_alu instid0(SALU_CYCLE_1) | instskip(NEXT) | instid1(VALU_DEP_1)
	s_mov_b32 s0, exec_lo
	v_cmpx_gt_u32_e32 8, v9
	s_xor_b32 s6, exec_lo, s0
	s_cbranch_execz .LBB13_49
; %bb.44:                               ;   in Loop: Header=BB13_3 Depth=1
	v_mov_b32_e32 v21, 0
	v_mov_b32_e32 v22, 0
	s_mov_b32 s7, exec_lo
	v_cmpx_ne_u32_e32 0, v9
	s_cbranch_execz .LBB13_48
; %bb.45:                               ;   in Loop: Header=BB13_3 Depth=1
	v_mov_b32_e32 v21, 0
	v_mov_b32_e32 v22, 0
	s_mov_b64 s[0:1], 0
	s_mov_b32 s13, 0
	s_mov_b64 s[4:5], 0
	.p2align	6
.LBB13_46:                              ;   Parent Loop BB13_3 Depth=1
                                        ; =>  This Inner Loop Header: Depth=2
	s_delay_alu instid0(SALU_CYCLE_1)
	v_add_co_u32 v23, vcc_lo, v25, s4
	v_add_co_ci_u32_e32 v24, vcc_lo, s5, v26, vcc_lo
	s_add_u32 s4, s4, 1
	s_addc_u32 s5, s5, 0
	v_cmp_eq_u32_e32 vcc_lo, s4, v9
	flat_load_u8 v23, v[23:24]
	s_waitcnt vmcnt(0) lgkmcnt(0)
	v_dual_mov_b32 v24, s11 :: v_dual_and_b32 v23, 0xffff, v23
	s_delay_alu instid0(VALU_DEP_1) | instskip(SKIP_3) | instid1(VALU_DEP_1)
	v_lshlrev_b64 v[23:24], s0, v[23:24]
	s_add_u32 s0, s0, 8
	s_addc_u32 s1, s1, 0
	s_or_b32 s13, vcc_lo, s13
	v_or_b32_e32 v22, v24, v22
	s_delay_alu instid0(VALU_DEP_2)
	v_or_b32_e32 v21, v23, v21
	s_and_not1_b32 exec_lo, exec_lo, s13
	s_cbranch_execnz .LBB13_46
; %bb.47:                               ;   in Loop: Header=BB13_3 Depth=1
	s_or_b32 exec_lo, exec_lo, s13
.LBB13_48:                              ;   in Loop: Header=BB13_3 Depth=1
	s_delay_alu instid0(SALU_CYCLE_1)
	s_or_b32 exec_lo, exec_lo, s7
	s_mov_b32 s1, 0
                                        ; implicit-def: $vgpr9
.LBB13_49:                              ;   in Loop: Header=BB13_3 Depth=1
	s_or_saveexec_b32 s0, s6
	v_mov_b32_e32 v27, s1
	s_xor_b32 exec_lo, exec_lo, s0
	s_cbranch_execz .LBB13_51
; %bb.50:                               ;   in Loop: Header=BB13_3 Depth=1
	flat_load_b64 v[21:22], v[25:26]
	v_add_co_u32 v25, vcc_lo, v25, 8
	v_add_nc_u32_e32 v27, -8, v9
	v_add_co_ci_u32_e32 v26, vcc_lo, 0, v26, vcc_lo
	s_waitcnt vmcnt(0) lgkmcnt(0)
	v_and_b32_e32 v23, 0xff, v22
	v_and_b32_e32 v24, 0xff00, v22
	;; [unrolled: 1-line block ×4, first 2 shown]
	v_or3_b32 v21, v21, 0, 0
	s_delay_alu instid0(VALU_DEP_4) | instskip(NEXT) | instid1(VALU_DEP_1)
	v_or_b32_e32 v23, v23, v24
	v_or3_b32 v22, v23, v28, v22
.LBB13_51:                              ;   in Loop: Header=BB13_3 Depth=1
	s_or_b32 exec_lo, exec_lo, s0
	s_delay_alu instid0(SALU_CYCLE_1)
	s_mov_b32 s0, exec_lo
	v_cmpx_gt_u32_e32 8, v27
	s_xor_b32 s4, exec_lo, s0
	s_cbranch_execz .LBB13_57
; %bb.52:                               ;   in Loop: Header=BB13_3 Depth=1
	v_mov_b32_e32 v23, 0
	v_mov_b32_e32 v24, 0
	s_mov_b32 s5, exec_lo
	v_cmpx_ne_u32_e32 0, v27
	s_cbranch_execz .LBB13_56
; %bb.53:                               ;   in Loop: Header=BB13_3 Depth=1
	v_mov_b32_e32 v23, 0
	v_mov_b32_e32 v24, 0
	s_mov_b64 s[0:1], 0
	s_mov_b32 s6, 0
	.p2align	6
.LBB13_54:                              ;   Parent Loop BB13_3 Depth=1
                                        ; =>  This Inner Loop Header: Depth=2
	flat_load_u8 v9, v[25:26]
	v_dual_mov_b32 v32, s11 :: v_dual_add_nc_u32 v27, -1, v27
	v_add_co_u32 v25, vcc_lo, v25, 1
	v_add_co_ci_u32_e32 v26, vcc_lo, 0, v26, vcc_lo
	s_delay_alu instid0(VALU_DEP_3) | instskip(SKIP_2) | instid1(VALU_DEP_1)
	v_cmp_eq_u32_e32 vcc_lo, 0, v27
	s_waitcnt vmcnt(0) lgkmcnt(0)
	v_and_b32_e32 v31, 0xffff, v9
	v_lshlrev_b64 v[31:32], s0, v[31:32]
	s_add_u32 s0, s0, 8
	s_addc_u32 s1, s1, 0
	s_or_b32 s6, vcc_lo, s6
	s_delay_alu instid0(VALU_DEP_1) | instskip(NEXT) | instid1(VALU_DEP_2)
	v_or_b32_e32 v24, v32, v24
	v_or_b32_e32 v23, v31, v23
	s_and_not1_b32 exec_lo, exec_lo, s6
	s_cbranch_execnz .LBB13_54
; %bb.55:                               ;   in Loop: Header=BB13_3 Depth=1
	s_or_b32 exec_lo, exec_lo, s6
.LBB13_56:                              ;   in Loop: Header=BB13_3 Depth=1
	s_delay_alu instid0(SALU_CYCLE_1)
	s_or_b32 exec_lo, exec_lo, s5
                                        ; implicit-def: $vgpr25_vgpr26
.LBB13_57:                              ;   in Loop: Header=BB13_3 Depth=1
	s_and_not1_saveexec_b32 s0, s4
	s_cbranch_execz .LBB13_59
; %bb.58:                               ;   in Loop: Header=BB13_3 Depth=1
	flat_load_b64 v[23:24], v[25:26]
	s_waitcnt vmcnt(0) lgkmcnt(0)
	v_and_b32_e32 v9, 0xff, v24
	v_and_b32_e32 v25, 0xff00, v24
	;; [unrolled: 1-line block ×4, first 2 shown]
	v_or3_b32 v23, v23, 0, 0
	s_delay_alu instid0(VALU_DEP_4) | instskip(NEXT) | instid1(VALU_DEP_1)
	v_or_b32_e32 v9, v9, v25
	v_or3_b32 v24, v9, v26, v24
.LBB13_59:                              ;   in Loop: Header=BB13_3 Depth=1
	s_or_b32 exec_lo, exec_lo, s0
	v_readfirstlane_b32 s0, v33
	v_mov_b32_e32 v31, 0
	v_mov_b32_e32 v32, 0
	s_delay_alu instid0(VALU_DEP_3) | instskip(NEXT) | instid1(VALU_DEP_1)
	v_cmp_eq_u32_e64 s0, s0, v33
	s_and_saveexec_b32 s1, s0
	s_cbranch_execz .LBB13_65
; %bb.60:                               ;   in Loop: Header=BB13_3 Depth=1
	s_waitcnt lgkmcnt(0)
	global_load_b64 v[27:28], v10, s[2:3] offset:24 glc
	s_waitcnt vmcnt(0)
	buffer_gl1_inv
	buffer_gl0_inv
	s_clause 0x1
	global_load_b64 v[25:26], v10, s[2:3] offset:40
	global_load_b64 v[31:32], v10, s[2:3]
	s_mov_b32 s4, exec_lo
	s_waitcnt vmcnt(1)
	v_and_b32_e32 v9, v26, v28
	v_and_b32_e32 v25, v25, v27
	s_delay_alu instid0(VALU_DEP_2) | instskip(NEXT) | instid1(VALU_DEP_2)
	v_mul_lo_u32 v9, v9, 24
	v_mul_hi_u32 v26, v25, 24
	v_mul_lo_u32 v25, v25, 24
	s_delay_alu instid0(VALU_DEP_2) | instskip(SKIP_1) | instid1(VALU_DEP_2)
	v_add_nc_u32_e32 v9, v26, v9
	s_waitcnt vmcnt(0)
	v_add_co_u32 v25, vcc_lo, v31, v25
	s_delay_alu instid0(VALU_DEP_2)
	v_add_co_ci_u32_e32 v26, vcc_lo, v32, v9, vcc_lo
	global_load_b64 v[25:26], v[25:26], off glc
	s_waitcnt vmcnt(0)
	global_atomic_cmpswap_b64 v[31:32], v10, v[25:28], s[2:3] offset:24 glc
	s_waitcnt vmcnt(0)
	buffer_gl1_inv
	buffer_gl0_inv
	v_cmpx_ne_u64_e64 v[31:32], v[27:28]
	s_cbranch_execz .LBB13_64
; %bb.61:                               ;   in Loop: Header=BB13_3 Depth=1
	s_mov_b32 s5, 0
	.p2align	6
.LBB13_62:                              ;   Parent Loop BB13_3 Depth=1
                                        ; =>  This Inner Loop Header: Depth=2
	s_sleep 1
	s_clause 0x1
	global_load_b64 v[25:26], v10, s[2:3] offset:40
	global_load_b64 v[34:35], v10, s[2:3]
	v_dual_mov_b32 v27, v31 :: v_dual_mov_b32 v28, v32
	s_waitcnt vmcnt(1)
	s_delay_alu instid0(VALU_DEP_1) | instskip(SKIP_1) | instid1(VALU_DEP_1)
	v_and_b32_e32 v9, v25, v27
	s_waitcnt vmcnt(0)
	v_mad_u64_u32 v[31:32], null, v9, 24, v[34:35]
	s_delay_alu instid0(VALU_DEP_1) | instskip(NEXT) | instid1(VALU_DEP_1)
	v_dual_mov_b32 v9, v32 :: v_dual_and_b32 v34, v26, v28
	v_mad_u64_u32 v[25:26], null, v34, 24, v[9:10]
	s_delay_alu instid0(VALU_DEP_1)
	v_mov_b32_e32 v32, v25
	global_load_b64 v[25:26], v[31:32], off glc
	s_waitcnt vmcnt(0)
	global_atomic_cmpswap_b64 v[31:32], v10, v[25:28], s[2:3] offset:24 glc
	s_waitcnt vmcnt(0)
	buffer_gl1_inv
	buffer_gl0_inv
	v_cmp_eq_u64_e32 vcc_lo, v[31:32], v[27:28]
	s_or_b32 s5, vcc_lo, s5
	s_delay_alu instid0(SALU_CYCLE_1)
	s_and_not1_b32 exec_lo, exec_lo, s5
	s_cbranch_execnz .LBB13_62
; %bb.63:                               ;   in Loop: Header=BB13_3 Depth=1
	s_or_b32 exec_lo, exec_lo, s5
.LBB13_64:                              ;   in Loop: Header=BB13_3 Depth=1
	s_delay_alu instid0(SALU_CYCLE_1)
	s_or_b32 exec_lo, exec_lo, s4
.LBB13_65:                              ;   in Loop: Header=BB13_3 Depth=1
	s_delay_alu instid0(SALU_CYCLE_1)
	s_or_b32 exec_lo, exec_lo, s1
	s_waitcnt lgkmcnt(0)
	s_clause 0x1
	global_load_b64 v[34:35], v10, s[2:3] offset:40
	global_load_b128 v[25:28], v10, s[2:3]
	v_readfirstlane_b32 s4, v31
	v_readfirstlane_b32 s5, v32
	s_mov_b32 s1, exec_lo
	s_waitcnt vmcnt(1)
	v_readfirstlane_b32 s6, v34
	v_readfirstlane_b32 s7, v35
	s_delay_alu instid0(VALU_DEP_1) | instskip(NEXT) | instid1(SALU_CYCLE_1)
	s_and_b64 s[6:7], s[4:5], s[6:7]
	s_mul_i32 s13, s7, 24
	s_mul_hi_u32 s14, s6, 24
	s_mul_i32 s15, s6, 24
	s_add_i32 s14, s14, s13
	s_waitcnt vmcnt(0)
	v_add_co_u32 v31, vcc_lo, v25, s15
	v_add_co_ci_u32_e32 v32, vcc_lo, s14, v26, vcc_lo
	s_and_saveexec_b32 s13, s0
	s_cbranch_execz .LBB13_67
; %bb.66:                               ;   in Loop: Header=BB13_3 Depth=1
	v_mov_b32_e32 v9, s1
	global_store_b128 v[31:32], v[9:12], off offset:8
.LBB13_67:                              ;   in Loop: Header=BB13_3 Depth=1
	s_or_b32 exec_lo, exec_lo, s13
	v_cmp_lt_u64_e32 vcc_lo, 56, v[4:5]
	v_or_b32_e32 v9, 0, v1
	v_or_b32_e32 v34, v0, v6
	v_lshl_add_u32 v35, v29, 2, 28
	s_lshl_b64 s[6:7], s[6:7], 12
	s_delay_alu instid0(SALU_CYCLE_1) | instskip(NEXT) | instid1(VALU_DEP_1)
	v_add_co_u32 v27, s1, v27, s6
	v_add_co_ci_u32_e64 v28, s1, s7, v28, s1
	v_dual_cndmask_b32 v1, v9, v1 :: v_dual_cndmask_b32 v0, v34, v0
	v_and_b32_e32 v9, 0x1e0, v35
	v_lshlrev_b32_e32 v34, 6, v33
	v_readfirstlane_b32 s6, v27
	v_readfirstlane_b32 s7, v28
	s_delay_alu instid0(VALU_DEP_4)
	v_and_or_b32 v0, 0xffffff1f, v0, v9
	s_clause 0x3
	global_store_b128 v34, v[0:3], s[6:7]
	global_store_b128 v34, v[13:16], s[6:7] offset:16
	global_store_b128 v34, v[17:20], s[6:7] offset:32
	;; [unrolled: 1-line block ×3, first 2 shown]
	s_and_saveexec_b32 s1, s0
	s_cbranch_execz .LBB13_75
; %bb.68:                               ;   in Loop: Header=BB13_3 Depth=1
	s_clause 0x1
	global_load_b64 v[17:18], v10, s[2:3] offset:32 glc
	global_load_b64 v[0:1], v10, s[2:3] offset:40
	v_dual_mov_b32 v15, s4 :: v_dual_mov_b32 v16, s5
	s_waitcnt vmcnt(0)
	v_readfirstlane_b32 s6, v0
	v_readfirstlane_b32 s7, v1
	s_delay_alu instid0(VALU_DEP_1) | instskip(NEXT) | instid1(SALU_CYCLE_1)
	s_and_b64 s[6:7], s[6:7], s[4:5]
	s_mul_i32 s7, s7, 24
	s_mul_hi_u32 s13, s6, 24
	s_mul_i32 s6, s6, 24
	s_add_i32 s13, s13, s7
	v_add_co_u32 v13, vcc_lo, v25, s6
	v_add_co_ci_u32_e32 v14, vcc_lo, s13, v26, vcc_lo
	s_mov_b32 s6, exec_lo
	global_store_b64 v[13:14], v[17:18], off
	s_waitcnt_vscnt null, 0x0
	global_atomic_cmpswap_b64 v[2:3], v10, v[15:18], s[2:3] offset:32 glc
	s_waitcnt vmcnt(0)
	v_cmpx_ne_u64_e64 v[2:3], v[17:18]
	s_cbranch_execz .LBB13_71
; %bb.69:                               ;   in Loop: Header=BB13_3 Depth=1
	s_mov_b32 s7, 0
.LBB13_70:                              ;   Parent Loop BB13_3 Depth=1
                                        ; =>  This Inner Loop Header: Depth=2
	v_dual_mov_b32 v0, s4 :: v_dual_mov_b32 v1, s5
	s_sleep 1
	global_store_b64 v[13:14], v[2:3], off
	s_waitcnt_vscnt null, 0x0
	global_atomic_cmpswap_b64 v[0:1], v10, v[0:3], s[2:3] offset:32 glc
	s_waitcnt vmcnt(0)
	v_cmp_eq_u64_e32 vcc_lo, v[0:1], v[2:3]
	v_dual_mov_b32 v3, v1 :: v_dual_mov_b32 v2, v0
	s_or_b32 s7, vcc_lo, s7
	s_delay_alu instid0(SALU_CYCLE_1)
	s_and_not1_b32 exec_lo, exec_lo, s7
	s_cbranch_execnz .LBB13_70
.LBB13_71:                              ;   in Loop: Header=BB13_3 Depth=1
	s_or_b32 exec_lo, exec_lo, s6
	global_load_b64 v[0:1], v10, s[2:3] offset:16
	s_mov_b32 s7, exec_lo
	s_mov_b32 s6, exec_lo
	v_mbcnt_lo_u32_b32 v2, s7, 0
	s_delay_alu instid0(VALU_DEP_1)
	v_cmpx_eq_u32_e32 0, v2
	s_cbranch_execz .LBB13_73
; %bb.72:                               ;   in Loop: Header=BB13_3 Depth=1
	s_bcnt1_i32_b32 s7, s7
	s_delay_alu instid0(SALU_CYCLE_1)
	v_mov_b32_e32 v9, s7
	s_waitcnt vmcnt(0)
	global_atomic_add_u64 v[0:1], v[9:10], off offset:8
.LBB13_73:                              ;   in Loop: Header=BB13_3 Depth=1
	s_or_b32 exec_lo, exec_lo, s6
	s_waitcnt vmcnt(0)
	global_load_b64 v[2:3], v[0:1], off offset:16
	s_waitcnt vmcnt(0)
	v_cmp_eq_u64_e32 vcc_lo, 0, v[2:3]
	s_cbranch_vccnz .LBB13_75
; %bb.74:                               ;   in Loop: Header=BB13_3 Depth=1
	global_load_b32 v9, v[0:1], off offset:24
	s_waitcnt vmcnt(0)
	v_and_b32_e32 v0, 0xffffff, v9
	s_waitcnt_vscnt null, 0x0
	global_store_b64 v[2:3], v[9:10], off
	v_readfirstlane_b32 m0, v0
	s_sendmsg sendmsg(MSG_INTERRUPT)
.LBB13_75:                              ;   in Loop: Header=BB13_3 Depth=1
	s_or_b32 exec_lo, exec_lo, s1
	v_add_co_u32 v0, vcc_lo, v27, v34
	v_add_co_ci_u32_e32 v1, vcc_lo, 0, v28, vcc_lo
	s_branch .LBB13_79
	.p2align	6
.LBB13_76:                              ;   in Loop: Header=BB13_79 Depth=2
	s_or_b32 exec_lo, exec_lo, s1
	s_delay_alu instid0(VALU_DEP_1) | instskip(NEXT) | instid1(VALU_DEP_1)
	v_readfirstlane_b32 s1, v2
	s_cmp_eq_u32 s1, 0
	s_cbranch_scc1 .LBB13_78
; %bb.77:                               ;   in Loop: Header=BB13_79 Depth=2
	s_sleep 1
	s_cbranch_execnz .LBB13_79
	s_branch .LBB13_81
	.p2align	6
.LBB13_78:                              ;   in Loop: Header=BB13_3 Depth=1
	s_branch .LBB13_81
.LBB13_79:                              ;   Parent Loop BB13_3 Depth=1
                                        ; =>  This Inner Loop Header: Depth=2
	v_mov_b32_e32 v2, 1
	s_and_saveexec_b32 s1, s0
	s_cbranch_execz .LBB13_76
; %bb.80:                               ;   in Loop: Header=BB13_79 Depth=2
	global_load_b32 v2, v[31:32], off offset:20 glc
	s_waitcnt vmcnt(0)
	buffer_gl1_inv
	buffer_gl0_inv
	v_and_b32_e32 v2, 1, v2
	s_branch .LBB13_76
.LBB13_81:                              ;   in Loop: Header=BB13_3 Depth=1
	global_load_b128 v[0:3], v[0:1], off
	s_and_saveexec_b32 s1, s0
	s_cbranch_execz .LBB13_2
; %bb.82:                               ;   in Loop: Header=BB13_3 Depth=1
	s_clause 0x2
	global_load_b64 v[2:3], v10, s[2:3] offset:40
	global_load_b64 v[17:18], v10, s[2:3] offset:24 glc
	global_load_b64 v[15:16], v10, s[2:3]
	s_waitcnt vmcnt(2)
	v_add_co_u32 v9, vcc_lo, v2, 1
	v_add_co_ci_u32_e32 v19, vcc_lo, 0, v3, vcc_lo
	s_delay_alu instid0(VALU_DEP_2) | instskip(NEXT) | instid1(VALU_DEP_2)
	v_add_co_u32 v13, vcc_lo, v9, s4
	v_add_co_ci_u32_e32 v14, vcc_lo, s5, v19, vcc_lo
	s_delay_alu instid0(VALU_DEP_1) | instskip(SKIP_1) | instid1(VALU_DEP_1)
	v_cmp_eq_u64_e32 vcc_lo, 0, v[13:14]
	v_dual_cndmask_b32 v14, v14, v19 :: v_dual_cndmask_b32 v13, v13, v9
	v_and_b32_e32 v3, v14, v3
	s_delay_alu instid0(VALU_DEP_2) | instskip(NEXT) | instid1(VALU_DEP_2)
	v_and_b32_e32 v2, v13, v2
	v_mul_lo_u32 v3, v3, 24
	s_delay_alu instid0(VALU_DEP_2) | instskip(SKIP_1) | instid1(VALU_DEP_2)
	v_mul_hi_u32 v9, v2, 24
	v_mul_lo_u32 v2, v2, 24
	v_add_nc_u32_e32 v3, v9, v3
	s_waitcnt vmcnt(0)
	s_delay_alu instid0(VALU_DEP_2) | instskip(SKIP_1) | instid1(VALU_DEP_3)
	v_add_co_u32 v2, vcc_lo, v15, v2
	v_mov_b32_e32 v15, v17
	v_add_co_ci_u32_e32 v3, vcc_lo, v16, v3, vcc_lo
	v_mov_b32_e32 v16, v18
	global_store_b64 v[2:3], v[17:18], off
	s_waitcnt_vscnt null, 0x0
	global_atomic_cmpswap_b64 v[15:16], v10, v[13:16], s[2:3] offset:24 glc
	s_waitcnt vmcnt(0)
	v_cmp_ne_u64_e32 vcc_lo, v[15:16], v[17:18]
	s_and_b32 exec_lo, exec_lo, vcc_lo
	s_cbranch_execz .LBB13_2
; %bb.83:                               ;   in Loop: Header=BB13_3 Depth=1
	s_mov_b32 s0, 0
.LBB13_84:                              ;   Parent Loop BB13_3 Depth=1
                                        ; =>  This Inner Loop Header: Depth=2
	s_sleep 1
	global_store_b64 v[2:3], v[15:16], off
	s_waitcnt_vscnt null, 0x0
	global_atomic_cmpswap_b64 v[17:18], v10, v[13:16], s[2:3] offset:24 glc
	s_waitcnt vmcnt(0)
	v_cmp_eq_u64_e32 vcc_lo, v[17:18], v[15:16]
	v_dual_mov_b32 v15, v17 :: v_dual_mov_b32 v16, v18
	s_or_b32 s0, vcc_lo, s0
	s_delay_alu instid0(SALU_CYCLE_1)
	s_and_not1_b32 exec_lo, exec_lo, s0
	s_cbranch_execnz .LBB13_84
	s_branch .LBB13_2
.LBB13_85:
	s_or_b32 exec_lo, exec_lo, s12
                                        ; implicit-def: $vgpr0
                                        ; implicit-def: $vgpr33
                                        ; implicit-def: $vgpr1
.LBB13_86:
	s_and_not1_saveexec_b32 s1, s10
	s_cbranch_execz .LBB13_108
; %bb.87:
	s_load_b64 s[2:3], s[8:9], 0x50
	v_readfirstlane_b32 s0, v33
	v_mov_b32_e32 v8, 0
	v_mov_b32_e32 v9, 0
	s_delay_alu instid0(VALU_DEP_3) | instskip(NEXT) | instid1(VALU_DEP_1)
	v_cmp_eq_u32_e64 s0, s0, v33
	s_and_saveexec_b32 s4, s0
	s_cbranch_execz .LBB13_93
; %bb.88:
	s_waitcnt vmcnt(0)
	v_mov_b32_e32 v2, 0
	s_mov_b32 s5, exec_lo
	s_waitcnt lgkmcnt(0)
	global_load_b64 v[5:6], v2, s[2:3] offset:24 glc
	s_waitcnt vmcnt(0)
	buffer_gl1_inv
	buffer_gl0_inv
	s_clause 0x1
	global_load_b64 v[3:4], v2, s[2:3] offset:40
	global_load_b64 v[7:8], v2, s[2:3]
	s_waitcnt vmcnt(1)
	v_and_b32_e32 v3, v3, v5
	v_and_b32_e32 v4, v4, v6
	s_delay_alu instid0(VALU_DEP_2) | instskip(NEXT) | instid1(VALU_DEP_2)
	v_mul_hi_u32 v9, v3, 24
	v_mul_lo_u32 v4, v4, 24
	v_mul_lo_u32 v3, v3, 24
	s_delay_alu instid0(VALU_DEP_2) | instskip(SKIP_1) | instid1(VALU_DEP_2)
	v_add_nc_u32_e32 v4, v9, v4
	s_waitcnt vmcnt(0)
	v_add_co_u32 v3, vcc_lo, v7, v3
	s_delay_alu instid0(VALU_DEP_2)
	v_add_co_ci_u32_e32 v4, vcc_lo, v8, v4, vcc_lo
	global_load_b64 v[3:4], v[3:4], off glc
	s_waitcnt vmcnt(0)
	global_atomic_cmpswap_b64 v[8:9], v2, v[3:6], s[2:3] offset:24 glc
	s_waitcnt vmcnt(0)
	buffer_gl1_inv
	buffer_gl0_inv
	v_cmpx_ne_u64_e64 v[8:9], v[5:6]
	s_cbranch_execz .LBB13_92
; %bb.89:
	s_mov_b32 s6, 0
	.p2align	6
.LBB13_90:                              ; =>This Inner Loop Header: Depth=1
	s_sleep 1
	s_clause 0x1
	global_load_b64 v[3:4], v2, s[2:3] offset:40
	global_load_b64 v[10:11], v2, s[2:3]
	v_dual_mov_b32 v5, v8 :: v_dual_mov_b32 v6, v9
	s_waitcnt vmcnt(1)
	s_delay_alu instid0(VALU_DEP_1) | instskip(NEXT) | instid1(VALU_DEP_2)
	v_and_b32_e32 v3, v3, v5
	v_and_b32_e32 v4, v4, v6
	s_waitcnt vmcnt(0)
	s_delay_alu instid0(VALU_DEP_2) | instskip(NEXT) | instid1(VALU_DEP_1)
	v_mad_u64_u32 v[7:8], null, v3, 24, v[10:11]
	v_mov_b32_e32 v3, v8
	s_delay_alu instid0(VALU_DEP_1)
	v_mad_u64_u32 v[8:9], null, v4, 24, v[3:4]
	global_load_b64 v[3:4], v[7:8], off glc
	s_waitcnt vmcnt(0)
	global_atomic_cmpswap_b64 v[8:9], v2, v[3:6], s[2:3] offset:24 glc
	s_waitcnt vmcnt(0)
	buffer_gl1_inv
	buffer_gl0_inv
	v_cmp_eq_u64_e32 vcc_lo, v[8:9], v[5:6]
	s_or_b32 s6, vcc_lo, s6
	s_delay_alu instid0(SALU_CYCLE_1)
	s_and_not1_b32 exec_lo, exec_lo, s6
	s_cbranch_execnz .LBB13_90
; %bb.91:
	s_or_b32 exec_lo, exec_lo, s6
.LBB13_92:
	s_delay_alu instid0(SALU_CYCLE_1)
	s_or_b32 exec_lo, exec_lo, s5
.LBB13_93:
	s_delay_alu instid0(SALU_CYCLE_1)
	s_or_b32 exec_lo, exec_lo, s4
	s_waitcnt vmcnt(0)
	v_mov_b32_e32 v2, 0
	v_readfirstlane_b32 s4, v8
	v_readfirstlane_b32 s5, v9
	s_mov_b32 s8, exec_lo
	s_waitcnt lgkmcnt(0)
	s_clause 0x1
	global_load_b64 v[10:11], v2, s[2:3] offset:40
	global_load_b128 v[4:7], v2, s[2:3]
	s_waitcnt vmcnt(1)
	v_readfirstlane_b32 s6, v10
	v_readfirstlane_b32 s7, v11
	s_delay_alu instid0(VALU_DEP_1) | instskip(NEXT) | instid1(SALU_CYCLE_1)
	s_and_b64 s[6:7], s[4:5], s[6:7]
	s_mul_i32 s9, s7, 24
	s_mul_hi_u32 s10, s6, 24
	s_mul_i32 s11, s6, 24
	s_add_i32 s10, s10, s9
	s_waitcnt vmcnt(0)
	v_add_co_u32 v8, vcc_lo, v4, s11
	v_add_co_ci_u32_e32 v9, vcc_lo, s10, v5, vcc_lo
	s_and_saveexec_b32 s9, s0
	s_cbranch_execz .LBB13_95
; %bb.94:
	v_dual_mov_b32 v10, s8 :: v_dual_mov_b32 v11, v2
	v_dual_mov_b32 v12, 2 :: v_dual_mov_b32 v13, 1
	global_store_b128 v[8:9], v[10:13], off offset:8
.LBB13_95:
	s_or_b32 exec_lo, exec_lo, s9
	s_lshl_b64 s[6:7], s[6:7], 12
	s_mov_b32 s8, 0
	v_add_co_u32 v6, vcc_lo, v6, s6
	v_add_co_ci_u32_e32 v7, vcc_lo, s7, v7, vcc_lo
	s_mov_b32 s11, s8
	s_mov_b32 s9, s8
	;; [unrolled: 1-line block ×3, first 2 shown]
	v_and_or_b32 v0, 0xffffff1f, v0, 32
	v_dual_mov_b32 v3, v2 :: v_dual_lshlrev_b32 v14, 6, v33
	v_readfirstlane_b32 s6, v6
	v_readfirstlane_b32 s7, v7
	v_dual_mov_b32 v13, s11 :: v_dual_mov_b32 v12, s10
	v_dual_mov_b32 v11, s9 :: v_dual_mov_b32 v10, s8
	s_clause 0x3
	global_store_b128 v14, v[0:3], s[6:7]
	global_store_b128 v14, v[10:13], s[6:7] offset:16
	global_store_b128 v14, v[10:13], s[6:7] offset:32
	;; [unrolled: 1-line block ×3, first 2 shown]
	s_and_saveexec_b32 s6, s0
	s_cbranch_execz .LBB13_102
; %bb.96:
	v_mov_b32_e32 v6, 0
	s_mov_b32 s7, exec_lo
	s_clause 0x1
	global_load_b64 v[12:13], v6, s[2:3] offset:32 glc
	global_load_b64 v[0:1], v6, s[2:3] offset:40
	v_dual_mov_b32 v11, s5 :: v_dual_mov_b32 v10, s4
	s_waitcnt vmcnt(0)
	v_and_b32_e32 v1, s5, v1
	v_and_b32_e32 v0, s4, v0
	s_delay_alu instid0(VALU_DEP_2) | instskip(NEXT) | instid1(VALU_DEP_2)
	v_mul_lo_u32 v1, v1, 24
	v_mul_hi_u32 v2, v0, 24
	v_mul_lo_u32 v0, v0, 24
	s_delay_alu instid0(VALU_DEP_2) | instskip(NEXT) | instid1(VALU_DEP_2)
	v_add_nc_u32_e32 v1, v2, v1
	v_add_co_u32 v4, vcc_lo, v4, v0
	s_delay_alu instid0(VALU_DEP_2)
	v_add_co_ci_u32_e32 v5, vcc_lo, v5, v1, vcc_lo
	global_store_b64 v[4:5], v[12:13], off
	s_waitcnt_vscnt null, 0x0
	global_atomic_cmpswap_b64 v[2:3], v6, v[10:13], s[2:3] offset:32 glc
	s_waitcnt vmcnt(0)
	v_cmpx_ne_u64_e64 v[2:3], v[12:13]
	s_cbranch_execz .LBB13_98
.LBB13_97:                              ; =>This Inner Loop Header: Depth=1
	v_dual_mov_b32 v0, s4 :: v_dual_mov_b32 v1, s5
	s_sleep 1
	global_store_b64 v[4:5], v[2:3], off
	s_waitcnt_vscnt null, 0x0
	global_atomic_cmpswap_b64 v[0:1], v6, v[0:3], s[2:3] offset:32 glc
	s_waitcnt vmcnt(0)
	v_cmp_eq_u64_e32 vcc_lo, v[0:1], v[2:3]
	v_dual_mov_b32 v3, v1 :: v_dual_mov_b32 v2, v0
	s_or_b32 s8, vcc_lo, s8
	s_delay_alu instid0(SALU_CYCLE_1)
	s_and_not1_b32 exec_lo, exec_lo, s8
	s_cbranch_execnz .LBB13_97
.LBB13_98:
	s_or_b32 exec_lo, exec_lo, s7
	v_mov_b32_e32 v3, 0
	s_mov_b32 s8, exec_lo
	s_mov_b32 s7, exec_lo
	v_mbcnt_lo_u32_b32 v2, s8, 0
	global_load_b64 v[0:1], v3, s[2:3] offset:16
	v_cmpx_eq_u32_e32 0, v2
	s_cbranch_execz .LBB13_100
; %bb.99:
	s_bcnt1_i32_b32 s8, s8
	s_delay_alu instid0(SALU_CYCLE_1)
	v_mov_b32_e32 v2, s8
	s_waitcnt vmcnt(0)
	global_atomic_add_u64 v[0:1], v[2:3], off offset:8
.LBB13_100:
	s_or_b32 exec_lo, exec_lo, s7
	s_waitcnt vmcnt(0)
	global_load_b64 v[2:3], v[0:1], off offset:16
	s_waitcnt vmcnt(0)
	v_cmp_eq_u64_e32 vcc_lo, 0, v[2:3]
	s_cbranch_vccnz .LBB13_102
; %bb.101:
	global_load_b32 v0, v[0:1], off offset:24
	s_waitcnt vmcnt(0)
	v_dual_mov_b32 v1, 0 :: v_dual_and_b32 v4, 0xffffff, v0
	s_waitcnt_vscnt null, 0x0
	global_store_b64 v[2:3], v[0:1], off
	v_readfirstlane_b32 m0, v4
	s_sendmsg sendmsg(MSG_INTERRUPT)
.LBB13_102:
	s_or_b32 exec_lo, exec_lo, s6
	s_branch .LBB13_106
	.p2align	6
.LBB13_103:                             ;   in Loop: Header=BB13_106 Depth=1
	s_or_b32 exec_lo, exec_lo, s6
	s_delay_alu instid0(VALU_DEP_1) | instskip(NEXT) | instid1(VALU_DEP_1)
	v_readfirstlane_b32 s6, v0
	s_cmp_eq_u32 s6, 0
	s_cbranch_scc1 .LBB13_105
; %bb.104:                              ;   in Loop: Header=BB13_106 Depth=1
	s_sleep 1
	s_cbranch_execnz .LBB13_106
	s_branch .LBB13_109
	.p2align	6
.LBB13_105:
	s_branch .LBB13_109
.LBB13_106:                             ; =>This Inner Loop Header: Depth=1
	v_mov_b32_e32 v0, 1
	s_and_saveexec_b32 s6, s0
	s_cbranch_execz .LBB13_103
; %bb.107:                              ;   in Loop: Header=BB13_106 Depth=1
	global_load_b32 v0, v[8:9], off offset:20 glc
	s_waitcnt vmcnt(0)
	buffer_gl1_inv
	buffer_gl0_inv
	v_and_b32_e32 v0, 1, v0
	s_branch .LBB13_103
.LBB13_108:
	s_or_b32 exec_lo, exec_lo, s1
	s_waitcnt vmcnt(0) lgkmcnt(0)
	s_setpc_b64 s[30:31]
.LBB13_109:
	s_and_saveexec_b32 s6, s0
	s_cbranch_execz .LBB13_113
; %bb.110:
	v_mov_b32_e32 v6, 0
	s_clause 0x2
	global_load_b64 v[2:3], v6, s[2:3] offset:40
	global_load_b64 v[7:8], v6, s[2:3] offset:24 glc
	global_load_b64 v[4:5], v6, s[2:3]
	s_waitcnt vmcnt(2)
	v_add_co_u32 v9, vcc_lo, v2, 1
	v_add_co_ci_u32_e32 v10, vcc_lo, 0, v3, vcc_lo
	s_delay_alu instid0(VALU_DEP_2) | instskip(NEXT) | instid1(VALU_DEP_2)
	v_add_co_u32 v0, vcc_lo, v9, s4
	v_add_co_ci_u32_e32 v1, vcc_lo, s5, v10, vcc_lo
	s_delay_alu instid0(VALU_DEP_1) | instskip(SKIP_1) | instid1(VALU_DEP_1)
	v_cmp_eq_u64_e32 vcc_lo, 0, v[0:1]
	v_dual_cndmask_b32 v1, v1, v10 :: v_dual_cndmask_b32 v0, v0, v9
	v_and_b32_e32 v3, v1, v3
	s_delay_alu instid0(VALU_DEP_2) | instskip(NEXT) | instid1(VALU_DEP_2)
	v_and_b32_e32 v2, v0, v2
	v_mul_lo_u32 v3, v3, 24
	s_delay_alu instid0(VALU_DEP_2) | instskip(SKIP_1) | instid1(VALU_DEP_2)
	v_mul_hi_u32 v9, v2, 24
	v_mul_lo_u32 v2, v2, 24
	v_add_nc_u32_e32 v3, v9, v3
	s_waitcnt vmcnt(0)
	s_delay_alu instid0(VALU_DEP_2) | instskip(SKIP_1) | instid1(VALU_DEP_3)
	v_add_co_u32 v4, vcc_lo, v4, v2
	v_mov_b32_e32 v2, v7
	v_add_co_ci_u32_e32 v5, vcc_lo, v5, v3, vcc_lo
	v_mov_b32_e32 v3, v8
	global_store_b64 v[4:5], v[7:8], off
	s_waitcnt_vscnt null, 0x0
	global_atomic_cmpswap_b64 v[2:3], v6, v[0:3], s[2:3] offset:24 glc
	s_waitcnt vmcnt(0)
	v_cmp_ne_u64_e32 vcc_lo, v[2:3], v[7:8]
	s_and_b32 exec_lo, exec_lo, vcc_lo
	s_cbranch_execz .LBB13_113
; %bb.111:
	s_mov_b32 s0, 0
.LBB13_112:                             ; =>This Inner Loop Header: Depth=1
	s_sleep 1
	global_store_b64 v[4:5], v[2:3], off
	s_waitcnt_vscnt null, 0x0
	global_atomic_cmpswap_b64 v[7:8], v6, v[0:3], s[2:3] offset:24 glc
	s_waitcnt vmcnt(0)
	v_cmp_eq_u64_e32 vcc_lo, v[7:8], v[2:3]
	v_dual_mov_b32 v2, v7 :: v_dual_mov_b32 v3, v8
	s_or_b32 s0, vcc_lo, s0
	s_delay_alu instid0(SALU_CYCLE_1)
	s_and_not1_b32 exec_lo, exec_lo, s0
	s_cbranch_execnz .LBB13_112
.LBB13_113:
	s_or_b32 exec_lo, exec_lo, s6
	s_delay_alu instid0(SALU_CYCLE_1)
	s_or_b32 exec_lo, exec_lo, s1
	s_waitcnt lgkmcnt(0)
	s_setpc_b64 s[30:31]
.Lfunc_end13:
	.size	__ockl_fprintf_append_string_n, .Lfunc_end13-__ockl_fprintf_append_string_n
                                        ; -- End function
	.section	.AMDGPU.csdata,"",@progbits
; Function info:
; codeLenInByte = 4740
; NumSgprs: 34
; NumVgprs: 36
; ScratchSize: 0
; MemoryBound: 0
	.text
	.p2align	2                               ; -- Begin function __assert_fail
	.type	__assert_fail,@function
__assert_fail:                          ; @__assert_fail
; %bb.0:
	s_waitcnt vmcnt(0) expcnt(0) lgkmcnt(0)
	s_mov_b32 s20, s33
	s_mov_b32 s33, s32
	s_or_saveexec_b32 s0, -1
	scratch_store_b32 off, v40, s33 offset:48 ; 4-byte Folded Spill
	s_mov_b32 exec_lo, s0
	v_writelane_b32 v40, s30, 0
	s_add_i32 s32, s32, 64
	v_writelane_b32 v40, s31, 1
	s_getpc_b64 s[0:1]
	s_add_u32 s0, s0, __const.__assert_fail.fmt@rel32@lo+4
	s_addc_u32 s1, s1, __const.__assert_fail.fmt@rel32@hi+12
	s_getpc_b64 s[2:3]
	s_add_u32 s2, s2, __const.__assert_fail.fmt@rel32@lo+20
	s_addc_u32 s3, s3, __const.__assert_fail.fmt@rel32@hi+28
	v_mbcnt_lo_u32_b32 v48, -1, 0
	s_clause 0x1
	s_load_b128 s[4:7], s[0:1], 0x0
	s_load_b128 s[12:15], s[2:3], 0x0
	s_load_b64 s[2:3], s[8:9], 0x50
	v_dual_mov_b32 v9, v1 :: v_dual_mov_b32 v8, v0
	v_mov_b32_e32 v18, 0x73256020
	v_readfirstlane_b32 s0, v48
	v_dual_mov_b32 v0, 0 :: v_dual_mov_b32 v7, v4
	v_dual_mov_b32 v6, v3 :: v_dual_mov_b32 v3, 0
	v_mov_b32_e32 v4, 0xa2e
	v_mov_b32_e32 v19, 0x61662027
	v_dual_mov_b32 v20, 0x64656c69 :: v_dual_mov_b32 v1, 0
	v_cmp_eq_u32_e64 s0, s0, v48
	s_waitcnt lgkmcnt(0)
	v_dual_mov_b32 v13, s7 :: v_dual_mov_b32 v12, s6
	v_dual_mov_b32 v11, s5 :: v_dual_mov_b32 v10, s4
	;; [unrolled: 1-line block ×4, first 2 shown]
	s_clause 0x4
	scratch_store_b128 off, v[10:13], s33
	scratch_store_b128 off, v[14:17], s33 offset:16
	scratch_store_b8 off, v3, s33 offset:46
	scratch_store_b16 off, v4, s33 offset:44
	scratch_store_b96 off, v[18:20], s33 offset:32
	s_and_saveexec_b32 s1, s0
	s_cbranch_execz .LBB14_6
; %bb.1:
	global_load_b64 v[12:13], v3, s[2:3] offset:24 glc
	s_waitcnt vmcnt(0)
	buffer_gl1_inv
	buffer_gl0_inv
	s_clause 0x1
	global_load_b64 v[0:1], v3, s[2:3] offset:40
	global_load_b64 v[4:5], v3, s[2:3]
	s_mov_b32 s4, exec_lo
	s_waitcnt vmcnt(1)
	v_and_b32_e32 v1, v1, v13
	v_and_b32_e32 v0, v0, v12
	s_delay_alu instid0(VALU_DEP_2) | instskip(NEXT) | instid1(VALU_DEP_2)
	v_mul_lo_u32 v1, v1, 24
	v_mul_hi_u32 v10, v0, 24
	v_mul_lo_u32 v0, v0, 24
	s_delay_alu instid0(VALU_DEP_2) | instskip(SKIP_1) | instid1(VALU_DEP_2)
	v_add_nc_u32_e32 v1, v10, v1
	s_waitcnt vmcnt(0)
	v_add_co_u32 v0, vcc_lo, v4, v0
	s_delay_alu instid0(VALU_DEP_2)
	v_add_co_ci_u32_e32 v1, vcc_lo, v5, v1, vcc_lo
	global_load_b64 v[10:11], v[0:1], off glc
	s_waitcnt vmcnt(0)
	global_atomic_cmpswap_b64 v[0:1], v3, v[10:13], s[2:3] offset:24 glc
	s_waitcnt vmcnt(0)
	buffer_gl1_inv
	buffer_gl0_inv
	v_cmpx_ne_u64_e64 v[0:1], v[12:13]
	s_cbranch_execz .LBB14_5
; %bb.2:
	s_mov_b32 s5, 0
	.p2align	6
.LBB14_3:                               ; =>This Inner Loop Header: Depth=1
	s_sleep 1
	s_clause 0x1
	global_load_b64 v[4:5], v3, s[2:3] offset:40
	global_load_b64 v[10:11], v3, s[2:3]
	v_dual_mov_b32 v13, v1 :: v_dual_mov_b32 v12, v0
	s_waitcnt vmcnt(1)
	s_delay_alu instid0(VALU_DEP_1) | instskip(SKIP_1) | instid1(VALU_DEP_1)
	v_and_b32_e32 v4, v4, v12
	s_waitcnt vmcnt(0)
	v_mad_u64_u32 v[0:1], null, v4, 24, v[10:11]
	v_and_b32_e32 v10, v5, v13
	s_delay_alu instid0(VALU_DEP_1) | instskip(NEXT) | instid1(VALU_DEP_1)
	v_mad_u64_u32 v[4:5], null, v10, 24, v[1:2]
	v_mov_b32_e32 v1, v4
	global_load_b64 v[10:11], v[0:1], off glc
	s_waitcnt vmcnt(0)
	global_atomic_cmpswap_b64 v[0:1], v3, v[10:13], s[2:3] offset:24 glc
	s_waitcnt vmcnt(0)
	buffer_gl1_inv
	buffer_gl0_inv
	v_cmp_eq_u64_e32 vcc_lo, v[0:1], v[12:13]
	s_or_b32 s5, vcc_lo, s5
	s_delay_alu instid0(SALU_CYCLE_1)
	s_and_not1_b32 exec_lo, exec_lo, s5
	s_cbranch_execnz .LBB14_3
; %bb.4:
	s_or_b32 exec_lo, exec_lo, s5
.LBB14_5:
	s_delay_alu instid0(SALU_CYCLE_1)
	s_or_b32 exec_lo, exec_lo, s4
.LBB14_6:
	s_delay_alu instid0(SALU_CYCLE_1)
	s_or_b32 exec_lo, exec_lo, s1
	s_clause 0x1
	global_load_b64 v[4:5], v3, s[2:3] offset:40
	global_load_b128 v[14:17], v3, s[2:3]
	v_readfirstlane_b32 s4, v0
	v_readfirstlane_b32 s5, v1
	s_mov_b32 s1, exec_lo
	s_waitcnt vmcnt(1)
	v_readfirstlane_b32 s6, v4
	v_readfirstlane_b32 s7, v5
	s_delay_alu instid0(VALU_DEP_1) | instskip(NEXT) | instid1(SALU_CYCLE_1)
	s_and_b64 s[6:7], s[4:5], s[6:7]
	s_mul_i32 s10, s7, 24
	s_mul_hi_u32 s11, s6, 24
	s_mul_i32 s12, s6, 24
	s_add_i32 s11, s11, s10
	s_waitcnt vmcnt(0)
	v_add_co_u32 v0, vcc_lo, v14, s12
	v_add_co_ci_u32_e32 v1, vcc_lo, s11, v15, vcc_lo
	s_and_saveexec_b32 s10, s0
	s_cbranch_execz .LBB14_8
; %bb.7:
	v_dual_mov_b32 v10, s1 :: v_dual_mov_b32 v11, 0
	v_dual_mov_b32 v12, 2 :: v_dual_mov_b32 v13, 1
	global_store_b128 v[0:1], v[10:13], off offset:8
.LBB14_8:
	s_or_b32 exec_lo, exec_lo, s10
	s_lshl_b64 s[6:7], s[6:7], 12
	v_dual_mov_b32 v12, 1 :: v_dual_lshlrev_b32 v39, 6, v48
	v_add_co_u32 v3, vcc_lo, v16, s6
	v_add_co_ci_u32_e32 v4, vcc_lo, s7, v17, vcc_lo
	v_dual_mov_b32 v11, 0 :: v_dual_mov_b32 v10, 33
	s_mov_b32 s12, 0
	s_delay_alu instid0(VALU_DEP_3)
	v_readfirstlane_b32 s6, v3
	s_mov_b32 s15, s12
	v_add_co_u32 v3, vcc_lo, v3, v39
	s_mov_b32 s13, s12
	s_mov_b32 s14, s12
	v_mov_b32_e32 v13, v11
	v_readfirstlane_b32 s7, v4
	v_dual_mov_b32 v19, s15 :: v_dual_mov_b32 v16, s12
	v_add_co_ci_u32_e32 v4, vcc_lo, 0, v4, vcc_lo
	v_dual_mov_b32 v18, s14 :: v_dual_mov_b32 v17, s13
	s_clause 0x3
	global_store_b128 v39, v[10:13], s[6:7]
	global_store_b128 v39, v[16:19], s[6:7] offset:16
	global_store_b128 v39, v[16:19], s[6:7] offset:32
	;; [unrolled: 1-line block ×3, first 2 shown]
	s_and_saveexec_b32 s1, s0
	s_cbranch_execz .LBB14_16
; %bb.9:
	s_clause 0x1
	global_load_b64 v[20:21], v11, s[2:3] offset:32 glc
	global_load_b64 v[12:13], v11, s[2:3] offset:40
	s_mov_b32 s6, exec_lo
	v_dual_mov_b32 v18, s4 :: v_dual_mov_b32 v19, s5
	s_waitcnt vmcnt(0)
	v_and_b32_e32 v5, s5, v13
	v_and_b32_e32 v10, s4, v12
	s_delay_alu instid0(VALU_DEP_2) | instskip(NEXT) | instid1(VALU_DEP_2)
	v_mul_lo_u32 v5, v5, 24
	v_mul_hi_u32 v12, v10, 24
	v_mul_lo_u32 v10, v10, 24
	s_delay_alu instid0(VALU_DEP_2) | instskip(NEXT) | instid1(VALU_DEP_2)
	v_add_nc_u32_e32 v5, v12, v5
	v_add_co_u32 v16, vcc_lo, v14, v10
	s_delay_alu instid0(VALU_DEP_2)
	v_add_co_ci_u32_e32 v17, vcc_lo, v15, v5, vcc_lo
	global_store_b64 v[16:17], v[20:21], off
	s_waitcnt_vscnt null, 0x0
	global_atomic_cmpswap_b64 v[14:15], v11, v[18:21], s[2:3] offset:32 glc
	s_waitcnt vmcnt(0)
	v_cmpx_ne_u64_e64 v[14:15], v[20:21]
	s_cbranch_execz .LBB14_12
; %bb.10:
	s_mov_b32 s7, 0
.LBB14_11:                              ; =>This Inner Loop Header: Depth=1
	v_dual_mov_b32 v12, s4 :: v_dual_mov_b32 v13, s5
	s_sleep 1
	global_store_b64 v[16:17], v[14:15], off
	s_waitcnt_vscnt null, 0x0
	global_atomic_cmpswap_b64 v[12:13], v11, v[12:15], s[2:3] offset:32 glc
	s_waitcnt vmcnt(0)
	v_cmp_eq_u64_e32 vcc_lo, v[12:13], v[14:15]
	v_dual_mov_b32 v15, v13 :: v_dual_mov_b32 v14, v12
	s_or_b32 s7, vcc_lo, s7
	s_delay_alu instid0(SALU_CYCLE_1)
	s_and_not1_b32 exec_lo, exec_lo, s7
	s_cbranch_execnz .LBB14_11
.LBB14_12:
	s_or_b32 exec_lo, exec_lo, s6
	v_mov_b32_e32 v13, 0
	s_mov_b32 s7, exec_lo
	s_mov_b32 s6, exec_lo
	v_mbcnt_lo_u32_b32 v5, s7, 0
	global_load_b64 v[10:11], v13, s[2:3] offset:16
	v_cmpx_eq_u32_e32 0, v5
	s_cbranch_execz .LBB14_14
; %bb.13:
	s_bcnt1_i32_b32 s7, s7
	s_delay_alu instid0(SALU_CYCLE_1)
	v_mov_b32_e32 v12, s7
	s_waitcnt vmcnt(0)
	global_atomic_add_u64 v[10:11], v[12:13], off offset:8
.LBB14_14:
	s_or_b32 exec_lo, exec_lo, s6
	s_waitcnt vmcnt(0)
	global_load_b64 v[12:13], v[10:11], off offset:16
	s_waitcnt vmcnt(0)
	v_cmp_eq_u64_e32 vcc_lo, 0, v[12:13]
	s_cbranch_vccnz .LBB14_16
; %bb.15:
	global_load_b32 v10, v[10:11], off offset:24
	v_mov_b32_e32 v11, 0
	s_waitcnt vmcnt(0)
	v_and_b32_e32 v5, 0xffffff, v10
	s_waitcnt_vscnt null, 0x0
	global_store_b64 v[12:13], v[10:11], off
	v_readfirstlane_b32 m0, v5
	s_sendmsg sendmsg(MSG_INTERRUPT)
.LBB14_16:
	s_or_b32 exec_lo, exec_lo, s1
	s_branch .LBB14_20
	.p2align	6
.LBB14_17:                              ;   in Loop: Header=BB14_20 Depth=1
	s_or_b32 exec_lo, exec_lo, s1
	s_delay_alu instid0(VALU_DEP_1) | instskip(NEXT) | instid1(VALU_DEP_1)
	v_readfirstlane_b32 s1, v5
	s_cmp_eq_u32 s1, 0
	s_cbranch_scc1 .LBB14_19
; %bb.18:                               ;   in Loop: Header=BB14_20 Depth=1
	s_sleep 1
	s_cbranch_execnz .LBB14_20
	s_branch .LBB14_22
	.p2align	6
.LBB14_19:
	s_branch .LBB14_22
.LBB14_20:                              ; =>This Inner Loop Header: Depth=1
	v_mov_b32_e32 v5, 1
	s_and_saveexec_b32 s1, s0
	s_cbranch_execz .LBB14_17
; %bb.21:                               ;   in Loop: Header=BB14_20 Depth=1
	global_load_b32 v5, v[0:1], off offset:20 glc
	s_waitcnt vmcnt(0)
	buffer_gl1_inv
	buffer_gl0_inv
	v_and_b32_e32 v5, 1, v5
	s_branch .LBB14_17
.LBB14_22:
	global_load_b64 v[14:15], v[3:4], off
	s_and_saveexec_b32 s1, s0
	s_cbranch_execz .LBB14_26
; %bb.23:
	v_mov_b32_e32 v3, 0
	s_clause 0x2
	global_load_b64 v[0:1], v3, s[2:3] offset:40
	global_load_b64 v[4:5], v3, s[2:3] offset:24 glc
	global_load_b64 v[12:13], v3, s[2:3]
	s_waitcnt vmcnt(2)
	v_add_co_u32 v16, vcc_lo, v0, 1
	v_add_co_ci_u32_e32 v17, vcc_lo, 0, v1, vcc_lo
	s_delay_alu instid0(VALU_DEP_2) | instskip(NEXT) | instid1(VALU_DEP_2)
	v_add_co_u32 v10, vcc_lo, v16, s4
	v_add_co_ci_u32_e32 v11, vcc_lo, s5, v17, vcc_lo
	s_delay_alu instid0(VALU_DEP_1) | instskip(SKIP_1) | instid1(VALU_DEP_1)
	v_cmp_eq_u64_e32 vcc_lo, 0, v[10:11]
	v_dual_cndmask_b32 v10, v10, v16 :: v_dual_cndmask_b32 v11, v11, v17
	v_and_b32_e32 v0, v10, v0
	s_delay_alu instid0(VALU_DEP_2) | instskip(NEXT) | instid1(VALU_DEP_2)
	v_and_b32_e32 v1, v11, v1
	v_mul_hi_u32 v16, v0, 24
	v_mul_lo_u32 v0, v0, 24
	s_waitcnt vmcnt(0)
	s_delay_alu instid0(VALU_DEP_1) | instskip(SKIP_2) | instid1(VALU_DEP_1)
	v_add_co_u32 v0, vcc_lo, v12, v0
	v_mov_b32_e32 v12, v4
	v_mul_lo_u32 v1, v1, 24
	v_add_nc_u32_e32 v1, v16, v1
	s_delay_alu instid0(VALU_DEP_1)
	v_add_co_ci_u32_e32 v1, vcc_lo, v13, v1, vcc_lo
	v_mov_b32_e32 v13, v5
	global_store_b64 v[0:1], v[4:5], off
	s_waitcnt_vscnt null, 0x0
	global_atomic_cmpswap_b64 v[12:13], v3, v[10:13], s[2:3] offset:24 glc
	s_waitcnt vmcnt(0)
	v_cmp_ne_u64_e32 vcc_lo, v[12:13], v[4:5]
	s_and_b32 exec_lo, exec_lo, vcc_lo
	s_cbranch_execz .LBB14_26
; %bb.24:
	s_mov_b32 s0, 0
.LBB14_25:                              ; =>This Inner Loop Header: Depth=1
	s_sleep 1
	global_store_b64 v[0:1], v[12:13], off
	s_waitcnt_vscnt null, 0x0
	global_atomic_cmpswap_b64 v[4:5], v3, v[10:13], s[2:3] offset:24 glc
	s_waitcnt vmcnt(0)
	v_cmp_eq_u64_e32 vcc_lo, v[4:5], v[12:13]
	v_dual_mov_b32 v13, v5 :: v_dual_mov_b32 v12, v4
	s_or_b32 s0, vcc_lo, s0
	s_delay_alu instid0(SALU_CYCLE_1)
	s_and_not1_b32 exec_lo, exec_lo, s0
	s_cbranch_execnz .LBB14_25
.LBB14_26:
	s_or_b32 exec_lo, exec_lo, s1
	v_mov_b32_e32 v1, s33
	s_mov_b32 s0, 0
.LBB14_27:                              ; =>This Inner Loop Header: Depth=1
	scratch_load_u8 v3, v1, off
	v_add_nc_u32_e32 v0, 1, v1
	s_delay_alu instid0(VALU_DEP_1) | instskip(SKIP_3) | instid1(SALU_CYCLE_1)
	v_mov_b32_e32 v1, v0
	s_waitcnt vmcnt(0)
	v_cmp_eq_u16_e32 vcc_lo, 0, v3
	s_or_b32 s0, vcc_lo, s0
	s_and_not1_b32 exec_lo, exec_lo, s0
	s_cbranch_execnz .LBB14_27
; %bb.28:
	s_or_b32 exec_lo, exec_lo, s0
	v_cmp_ne_u32_e64 s0, -1, s33
	s_delay_alu instid0(VALU_DEP_1)
	s_and_b32 vcc_lo, exec_lo, s0
	s_cbranch_vccz .LBB14_113
; %bb.29:
	v_subrev_nc_u32_e32 v0, s33, v0
	v_dual_mov_b32 v38, s33 :: v_dual_and_b32 v5, 2, v14
	v_dual_mov_b32 v17, 0 :: v_dual_and_b32 v10, -3, v14
	v_dual_mov_b32 v11, v15 :: v_dual_mov_b32 v18, 2
	s_delay_alu instid0(VALU_DEP_4)
	v_ashrrev_i32_e32 v1, 31, v0
	v_mov_b32_e32 v19, 1
	s_mov_b32 s11, 0
	s_mov_b32 s10, 0
	s_branch .LBB14_31
.LBB14_30:                              ;   in Loop: Header=BB14_31 Depth=1
	s_or_b32 exec_lo, exec_lo, s1
	v_sub_co_u32 v0, vcc_lo, v0, v3
	v_sub_co_ci_u32_e32 v1, vcc_lo, v1, v4, vcc_lo
	v_add_nc_u32_e32 v38, v38, v3
	s_delay_alu instid0(VALU_DEP_2) | instskip(SKIP_1) | instid1(SALU_CYCLE_1)
	v_cmp_eq_u64_e32 vcc_lo, 0, v[0:1]
	s_or_b32 s10, vcc_lo, s10
	s_and_not1_b32 exec_lo, exec_lo, s10
	s_cbranch_execz .LBB14_114
.LBB14_31:                              ; =>This Loop Header: Depth=1
                                        ;     Child Loop BB14_34 Depth 2
                                        ;     Child Loop BB14_42 Depth 2
	;; [unrolled: 1-line block ×11, first 2 shown]
	v_cmp_gt_u64_e32 vcc_lo, 56, v[0:1]
	s_mov_b32 s4, exec_lo
                                        ; implicit-def: $vgpr12_vgpr13
                                        ; implicit-def: $sgpr1
	v_dual_cndmask_b32 v4, 0, v1 :: v_dual_cndmask_b32 v3, 56, v0
	v_cmpx_gt_u64_e32 8, v[0:1]
	s_xor_b32 s4, exec_lo, s4
	s_cbranch_execz .LBB14_37
; %bb.32:                               ;   in Loop: Header=BB14_31 Depth=1
	s_waitcnt vmcnt(0)
	v_mov_b32_e32 v12, 0
	v_mov_b32_e32 v13, 0
	s_mov_b64 s[0:1], 0
	s_mov_b32 s5, exec_lo
	v_cmpx_ne_u64_e32 0, v[0:1]
	s_cbranch_execz .LBB14_36
; %bb.33:                               ;   in Loop: Header=BB14_31 Depth=1
	v_lshlrev_b64 v[20:21], 3, v[3:4]
	v_mov_b32_e32 v12, 0
	v_dual_mov_b32 v13, 0 :: v_dual_mov_b32 v16, v38
	s_mov_b32 s6, 0
.LBB14_34:                              ;   Parent Loop BB14_31 Depth=1
                                        ; =>  This Inner Loop Header: Depth=2
	scratch_load_u8 v21, v16, off
	v_mov_b32_e32 v22, s11
	v_add_nc_u32_e32 v16, 1, v16
	s_waitcnt vmcnt(0)
	v_and_b32_e32 v21, 0xffff, v21
	s_delay_alu instid0(VALU_DEP_1) | instskip(SKIP_3) | instid1(VALU_DEP_2)
	v_lshlrev_b64 v[21:22], s0, v[21:22]
	s_add_u32 s0, s0, 8
	s_addc_u32 s1, s1, 0
	v_cmp_eq_u32_e32 vcc_lo, s0, v20
	v_or_b32_e32 v13, v22, v13
	s_delay_alu instid0(VALU_DEP_3) | instskip(SKIP_1) | instid1(SALU_CYCLE_1)
	v_or_b32_e32 v12, v21, v12
	s_or_b32 s6, vcc_lo, s6
	s_and_not1_b32 exec_lo, exec_lo, s6
	s_cbranch_execnz .LBB14_34
; %bb.35:                               ;   in Loop: Header=BB14_31 Depth=1
	s_or_b32 exec_lo, exec_lo, s6
.LBB14_36:                              ;   in Loop: Header=BB14_31 Depth=1
	s_delay_alu instid0(SALU_CYCLE_1)
	s_or_b32 exec_lo, exec_lo, s5
	s_mov_b32 s1, 0
.LBB14_37:                              ;   in Loop: Header=BB14_31 Depth=1
	s_or_saveexec_b32 s0, s4
	v_mov_b32_e32 v22, s1
	v_mov_b32_e32 v16, v38
	s_xor_b32 exec_lo, exec_lo, s0
	s_cbranch_execz .LBB14_39
; %bb.38:                               ;   in Loop: Header=BB14_31 Depth=1
	scratch_load_b64 v[12:13], v38, off
	v_add_nc_u32_e32 v22, -8, v3
	s_waitcnt vmcnt(0)
	v_and_b32_e32 v16, 0xff, v13
	v_and_b32_e32 v20, 0xff00, v13
	;; [unrolled: 1-line block ×4, first 2 shown]
	v_or3_b32 v12, v12, 0, 0
	s_delay_alu instid0(VALU_DEP_4) | instskip(NEXT) | instid1(VALU_DEP_1)
	v_or_b32_e32 v16, v16, v20
	v_or3_b32 v13, v16, v21, v13
	v_add_nc_u32_e32 v16, 8, v38
.LBB14_39:                              ;   in Loop: Header=BB14_31 Depth=1
	s_or_b32 exec_lo, exec_lo, s0
                                        ; implicit-def: $vgpr20_vgpr21
                                        ; implicit-def: $sgpr1
	s_delay_alu instid0(SALU_CYCLE_1)
	s_mov_b32 s0, exec_lo
	v_cmpx_gt_u32_e32 8, v22
	s_xor_b32 s4, exec_lo, s0
	s_cbranch_execz .LBB14_45
; %bb.40:                               ;   in Loop: Header=BB14_31 Depth=1
	v_mov_b32_e32 v20, 0
	v_mov_b32_e32 v21, 0
	s_mov_b32 s5, exec_lo
	v_cmpx_ne_u32_e32 0, v22
	s_cbranch_execz .LBB14_44
; %bb.41:                               ;   in Loop: Header=BB14_31 Depth=1
	v_mov_b32_e32 v20, 0
	v_mov_b32_e32 v21, 0
	s_mov_b64 s[0:1], 0
	s_mov_b32 s6, 0
	s_mov_b32 s7, 0
	.p2align	6
.LBB14_42:                              ;   Parent Loop BB14_31 Depth=1
                                        ; =>  This Inner Loop Header: Depth=2
	s_delay_alu instid0(SALU_CYCLE_1) | instskip(SKIP_1) | instid1(SALU_CYCLE_1)
	v_dual_mov_b32 v24, s11 :: v_dual_add_nc_u32 v23, s7, v16
	s_add_i32 s7, s7, 1
	v_cmp_eq_u32_e32 vcc_lo, s7, v22
	scratch_load_u8 v23, v23, off
	s_waitcnt vmcnt(0)
	v_and_b32_e32 v23, 0xffff, v23
	s_delay_alu instid0(VALU_DEP_1) | instskip(SKIP_3) | instid1(VALU_DEP_1)
	v_lshlrev_b64 v[23:24], s0, v[23:24]
	s_add_u32 s0, s0, 8
	s_addc_u32 s1, s1, 0
	s_or_b32 s6, vcc_lo, s6
	v_or_b32_e32 v21, v24, v21
	s_delay_alu instid0(VALU_DEP_2)
	v_or_b32_e32 v20, v23, v20
	s_and_not1_b32 exec_lo, exec_lo, s6
	s_cbranch_execnz .LBB14_42
; %bb.43:                               ;   in Loop: Header=BB14_31 Depth=1
	s_or_b32 exec_lo, exec_lo, s6
.LBB14_44:                              ;   in Loop: Header=BB14_31 Depth=1
	s_delay_alu instid0(SALU_CYCLE_1)
	s_or_b32 exec_lo, exec_lo, s5
	s_mov_b32 s1, 0
                                        ; implicit-def: $vgpr22
.LBB14_45:                              ;   in Loop: Header=BB14_31 Depth=1
	s_or_saveexec_b32 s0, s4
	v_mov_b32_e32 v24, s1
	s_xor_b32 exec_lo, exec_lo, s0
	s_cbranch_execz .LBB14_47
; %bb.46:                               ;   in Loop: Header=BB14_31 Depth=1
	scratch_load_b64 v[20:21], v16, off
	v_add_nc_u32_e32 v16, 8, v16
	s_waitcnt vmcnt(0)
	v_and_b32_e32 v23, 0xff, v21
	v_and_b32_e32 v24, 0xff00, v21
	;; [unrolled: 1-line block ×4, first 2 shown]
	v_or3_b32 v20, v20, 0, 0
	s_delay_alu instid0(VALU_DEP_4) | instskip(SKIP_1) | instid1(VALU_DEP_2)
	v_or_b32_e32 v23, v23, v24
	v_add_nc_u32_e32 v24, -8, v22
	v_or3_b32 v21, v23, v25, v21
.LBB14_47:                              ;   in Loop: Header=BB14_31 Depth=1
	s_or_b32 exec_lo, exec_lo, s0
                                        ; implicit-def: $sgpr1
	s_delay_alu instid0(SALU_CYCLE_1) | instskip(NEXT) | instid1(VALU_DEP_1)
	s_mov_b32 s0, exec_lo
	v_cmpx_gt_u32_e32 8, v24
	s_xor_b32 s4, exec_lo, s0
	s_cbranch_execz .LBB14_53
; %bb.48:                               ;   in Loop: Header=BB14_31 Depth=1
	v_mov_b32_e32 v22, 0
	v_mov_b32_e32 v23, 0
	s_mov_b32 s5, exec_lo
	v_cmpx_ne_u32_e32 0, v24
	s_cbranch_execz .LBB14_52
; %bb.49:                               ;   in Loop: Header=BB14_31 Depth=1
	v_mov_b32_e32 v22, 0
	v_mov_b32_e32 v23, 0
	s_mov_b64 s[0:1], 0
	s_mov_b32 s6, 0
	s_mov_b32 s7, 0
	.p2align	6
.LBB14_50:                              ;   Parent Loop BB14_31 Depth=1
                                        ; =>  This Inner Loop Header: Depth=2
	s_delay_alu instid0(SALU_CYCLE_1) | instskip(SKIP_1) | instid1(SALU_CYCLE_1)
	v_dual_mov_b32 v26, s11 :: v_dual_add_nc_u32 v25, s7, v16
	s_add_i32 s7, s7, 1
	v_cmp_eq_u32_e32 vcc_lo, s7, v24
	scratch_load_u8 v25, v25, off
	s_waitcnt vmcnt(0)
	v_and_b32_e32 v25, 0xffff, v25
	s_delay_alu instid0(VALU_DEP_1) | instskip(SKIP_3) | instid1(VALU_DEP_1)
	v_lshlrev_b64 v[25:26], s0, v[25:26]
	s_add_u32 s0, s0, 8
	s_addc_u32 s1, s1, 0
	s_or_b32 s6, vcc_lo, s6
	v_or_b32_e32 v23, v26, v23
	s_delay_alu instid0(VALU_DEP_2)
	v_or_b32_e32 v22, v25, v22
	s_and_not1_b32 exec_lo, exec_lo, s6
	s_cbranch_execnz .LBB14_50
; %bb.51:                               ;   in Loop: Header=BB14_31 Depth=1
	s_or_b32 exec_lo, exec_lo, s6
.LBB14_52:                              ;   in Loop: Header=BB14_31 Depth=1
	s_delay_alu instid0(SALU_CYCLE_1)
	s_or_b32 exec_lo, exec_lo, s5
	s_mov_b32 s1, 0
                                        ; implicit-def: $vgpr24
.LBB14_53:                              ;   in Loop: Header=BB14_31 Depth=1
	s_or_saveexec_b32 s0, s4
	v_mov_b32_e32 v26, s1
	s_xor_b32 exec_lo, exec_lo, s0
	s_cbranch_execz .LBB14_55
; %bb.54:                               ;   in Loop: Header=BB14_31 Depth=1
	scratch_load_b64 v[22:23], v16, off
	v_add_nc_u32_e32 v16, 8, v16
	s_waitcnt vmcnt(0)
	v_and_b32_e32 v25, 0xff, v23
	v_and_b32_e32 v26, 0xff00, v23
	;; [unrolled: 1-line block ×4, first 2 shown]
	v_or3_b32 v22, v22, 0, 0
	s_delay_alu instid0(VALU_DEP_4) | instskip(SKIP_1) | instid1(VALU_DEP_2)
	v_or_b32_e32 v25, v25, v26
	v_add_nc_u32_e32 v26, -8, v24
	v_or3_b32 v23, v25, v27, v23
.LBB14_55:                              ;   in Loop: Header=BB14_31 Depth=1
	s_or_b32 exec_lo, exec_lo, s0
                                        ; implicit-def: $vgpr24_vgpr25
                                        ; implicit-def: $sgpr1
	s_delay_alu instid0(SALU_CYCLE_1) | instskip(NEXT) | instid1(VALU_DEP_1)
	s_mov_b32 s0, exec_lo
	v_cmpx_gt_u32_e32 8, v26
	s_xor_b32 s4, exec_lo, s0
	s_cbranch_execz .LBB14_61
; %bb.56:                               ;   in Loop: Header=BB14_31 Depth=1
	v_mov_b32_e32 v24, 0
	v_mov_b32_e32 v25, 0
	s_mov_b32 s5, exec_lo
	v_cmpx_ne_u32_e32 0, v26
	s_cbranch_execz .LBB14_60
; %bb.57:                               ;   in Loop: Header=BB14_31 Depth=1
	v_mov_b32_e32 v24, 0
	v_mov_b32_e32 v25, 0
	s_mov_b64 s[0:1], 0
	s_mov_b32 s6, 0
	s_mov_b32 s7, 0
	.p2align	6
.LBB14_58:                              ;   Parent Loop BB14_31 Depth=1
                                        ; =>  This Inner Loop Header: Depth=2
	s_delay_alu instid0(SALU_CYCLE_1) | instskip(SKIP_1) | instid1(SALU_CYCLE_1)
	v_dual_mov_b32 v28, s11 :: v_dual_add_nc_u32 v27, s7, v16
	s_add_i32 s7, s7, 1
	v_cmp_eq_u32_e32 vcc_lo, s7, v26
	scratch_load_u8 v27, v27, off
	s_waitcnt vmcnt(0)
	v_and_b32_e32 v27, 0xffff, v27
	s_delay_alu instid0(VALU_DEP_1) | instskip(SKIP_3) | instid1(VALU_DEP_1)
	v_lshlrev_b64 v[27:28], s0, v[27:28]
	s_add_u32 s0, s0, 8
	s_addc_u32 s1, s1, 0
	s_or_b32 s6, vcc_lo, s6
	v_or_b32_e32 v25, v28, v25
	s_delay_alu instid0(VALU_DEP_2)
	v_or_b32_e32 v24, v27, v24
	s_and_not1_b32 exec_lo, exec_lo, s6
	s_cbranch_execnz .LBB14_58
; %bb.59:                               ;   in Loop: Header=BB14_31 Depth=1
	s_or_b32 exec_lo, exec_lo, s6
.LBB14_60:                              ;   in Loop: Header=BB14_31 Depth=1
	s_delay_alu instid0(SALU_CYCLE_1)
	s_or_b32 exec_lo, exec_lo, s5
	s_mov_b32 s1, 0
                                        ; implicit-def: $vgpr26
.LBB14_61:                              ;   in Loop: Header=BB14_31 Depth=1
	s_or_saveexec_b32 s0, s4
	v_mov_b32_e32 v28, s1
	s_xor_b32 exec_lo, exec_lo, s0
	s_cbranch_execz .LBB14_63
; %bb.62:                               ;   in Loop: Header=BB14_31 Depth=1
	scratch_load_b64 v[24:25], v16, off
	v_add_nc_u32_e32 v16, 8, v16
	s_waitcnt vmcnt(0)
	v_and_b32_e32 v27, 0xff, v25
	v_and_b32_e32 v28, 0xff00, v25
	;; [unrolled: 1-line block ×4, first 2 shown]
	v_or3_b32 v24, v24, 0, 0
	s_delay_alu instid0(VALU_DEP_4) | instskip(SKIP_1) | instid1(VALU_DEP_2)
	v_or_b32_e32 v27, v27, v28
	v_add_nc_u32_e32 v28, -8, v26
	v_or3_b32 v25, v27, v29, v25
.LBB14_63:                              ;   in Loop: Header=BB14_31 Depth=1
	s_or_b32 exec_lo, exec_lo, s0
                                        ; implicit-def: $sgpr1
	s_delay_alu instid0(SALU_CYCLE_1) | instskip(NEXT) | instid1(VALU_DEP_1)
	s_mov_b32 s0, exec_lo
	v_cmpx_gt_u32_e32 8, v28
	s_xor_b32 s4, exec_lo, s0
	s_cbranch_execz .LBB14_69
; %bb.64:                               ;   in Loop: Header=BB14_31 Depth=1
	v_mov_b32_e32 v26, 0
	v_mov_b32_e32 v27, 0
	s_mov_b32 s5, exec_lo
	v_cmpx_ne_u32_e32 0, v28
	s_cbranch_execz .LBB14_68
; %bb.65:                               ;   in Loop: Header=BB14_31 Depth=1
	v_mov_b32_e32 v26, 0
	v_mov_b32_e32 v27, 0
	s_mov_b64 s[0:1], 0
	s_mov_b32 s6, 0
	s_mov_b32 s7, 0
	.p2align	6
.LBB14_66:                              ;   Parent Loop BB14_31 Depth=1
                                        ; =>  This Inner Loop Header: Depth=2
	s_delay_alu instid0(SALU_CYCLE_1) | instskip(SKIP_1) | instid1(SALU_CYCLE_1)
	v_dual_mov_b32 v30, s11 :: v_dual_add_nc_u32 v29, s7, v16
	s_add_i32 s7, s7, 1
	v_cmp_eq_u32_e32 vcc_lo, s7, v28
	scratch_load_u8 v29, v29, off
	s_waitcnt vmcnt(0)
	v_and_b32_e32 v29, 0xffff, v29
	s_delay_alu instid0(VALU_DEP_1) | instskip(SKIP_3) | instid1(VALU_DEP_1)
	v_lshlrev_b64 v[29:30], s0, v[29:30]
	s_add_u32 s0, s0, 8
	s_addc_u32 s1, s1, 0
	s_or_b32 s6, vcc_lo, s6
	v_or_b32_e32 v27, v30, v27
	s_delay_alu instid0(VALU_DEP_2)
	v_or_b32_e32 v26, v29, v26
	s_and_not1_b32 exec_lo, exec_lo, s6
	s_cbranch_execnz .LBB14_66
; %bb.67:                               ;   in Loop: Header=BB14_31 Depth=1
	s_or_b32 exec_lo, exec_lo, s6
.LBB14_68:                              ;   in Loop: Header=BB14_31 Depth=1
	s_delay_alu instid0(SALU_CYCLE_1)
	s_or_b32 exec_lo, exec_lo, s5
	s_mov_b32 s1, 0
                                        ; implicit-def: $vgpr28
.LBB14_69:                              ;   in Loop: Header=BB14_31 Depth=1
	s_or_saveexec_b32 s0, s4
	v_mov_b32_e32 v30, s1
	s_xor_b32 exec_lo, exec_lo, s0
	s_cbranch_execz .LBB14_71
; %bb.70:                               ;   in Loop: Header=BB14_31 Depth=1
	scratch_load_b64 v[26:27], v16, off
	v_add_nc_u32_e32 v16, 8, v16
	s_waitcnt vmcnt(0)
	v_and_b32_e32 v29, 0xff, v27
	v_and_b32_e32 v30, 0xff00, v27
	;; [unrolled: 1-line block ×4, first 2 shown]
	v_or3_b32 v26, v26, 0, 0
	s_delay_alu instid0(VALU_DEP_4) | instskip(SKIP_1) | instid1(VALU_DEP_2)
	v_or_b32_e32 v29, v29, v30
	v_add_nc_u32_e32 v30, -8, v28
	v_or3_b32 v27, v29, v31, v27
.LBB14_71:                              ;   in Loop: Header=BB14_31 Depth=1
	s_or_b32 exec_lo, exec_lo, s0
                                        ; implicit-def: $vgpr28_vgpr29
                                        ; implicit-def: $sgpr1
	s_delay_alu instid0(SALU_CYCLE_1) | instskip(NEXT) | instid1(VALU_DEP_1)
	s_mov_b32 s0, exec_lo
	v_cmpx_gt_u32_e32 8, v30
	s_xor_b32 s4, exec_lo, s0
	s_cbranch_execz .LBB14_77
; %bb.72:                               ;   in Loop: Header=BB14_31 Depth=1
	v_mov_b32_e32 v28, 0
	v_mov_b32_e32 v29, 0
	s_mov_b32 s5, exec_lo
	v_cmpx_ne_u32_e32 0, v30
	s_cbranch_execz .LBB14_76
; %bb.73:                               ;   in Loop: Header=BB14_31 Depth=1
	v_mov_b32_e32 v28, 0
	v_mov_b32_e32 v29, 0
	s_mov_b64 s[0:1], 0
	s_mov_b32 s6, 0
	s_mov_b32 s7, 0
	.p2align	6
.LBB14_74:                              ;   Parent Loop BB14_31 Depth=1
                                        ; =>  This Inner Loop Header: Depth=2
	s_delay_alu instid0(SALU_CYCLE_1) | instskip(SKIP_1) | instid1(SALU_CYCLE_1)
	v_dual_mov_b32 v32, s11 :: v_dual_add_nc_u32 v31, s7, v16
	s_add_i32 s7, s7, 1
	v_cmp_eq_u32_e32 vcc_lo, s7, v30
	scratch_load_u8 v31, v31, off
	s_waitcnt vmcnt(0)
	v_and_b32_e32 v31, 0xffff, v31
	s_delay_alu instid0(VALU_DEP_1) | instskip(SKIP_3) | instid1(VALU_DEP_1)
	v_lshlrev_b64 v[31:32], s0, v[31:32]
	s_add_u32 s0, s0, 8
	s_addc_u32 s1, s1, 0
	s_or_b32 s6, vcc_lo, s6
	v_or_b32_e32 v29, v32, v29
	s_delay_alu instid0(VALU_DEP_2)
	v_or_b32_e32 v28, v31, v28
	s_and_not1_b32 exec_lo, exec_lo, s6
	s_cbranch_execnz .LBB14_74
; %bb.75:                               ;   in Loop: Header=BB14_31 Depth=1
	s_or_b32 exec_lo, exec_lo, s6
.LBB14_76:                              ;   in Loop: Header=BB14_31 Depth=1
	s_delay_alu instid0(SALU_CYCLE_1)
	s_or_b32 exec_lo, exec_lo, s5
	s_mov_b32 s1, 0
                                        ; implicit-def: $vgpr30
.LBB14_77:                              ;   in Loop: Header=BB14_31 Depth=1
	s_or_saveexec_b32 s0, s4
	v_mov_b32_e32 v32, s1
	s_xor_b32 exec_lo, exec_lo, s0
	s_cbranch_execz .LBB14_79
; %bb.78:                               ;   in Loop: Header=BB14_31 Depth=1
	scratch_load_b64 v[28:29], v16, off
	v_add_nc_u32_e32 v16, 8, v16
	s_waitcnt vmcnt(0)
	v_and_b32_e32 v31, 0xff, v29
	v_and_b32_e32 v32, 0xff00, v29
	;; [unrolled: 1-line block ×4, first 2 shown]
	v_or3_b32 v28, v28, 0, 0
	s_delay_alu instid0(VALU_DEP_4) | instskip(SKIP_1) | instid1(VALU_DEP_2)
	v_or_b32_e32 v31, v31, v32
	v_add_nc_u32_e32 v32, -8, v30
	v_or3_b32 v29, v31, v33, v29
.LBB14_79:                              ;   in Loop: Header=BB14_31 Depth=1
	s_or_b32 exec_lo, exec_lo, s0
	s_delay_alu instid0(SALU_CYCLE_1) | instskip(NEXT) | instid1(VALU_DEP_1)
	s_mov_b32 s0, exec_lo
	v_cmpx_gt_u32_e32 8, v32
	s_xor_b32 s4, exec_lo, s0
	s_cbranch_execz .LBB14_85
; %bb.80:                               ;   in Loop: Header=BB14_31 Depth=1
	v_mov_b32_e32 v30, 0
	v_mov_b32_e32 v31, 0
	s_mov_b32 s5, exec_lo
	v_cmpx_ne_u32_e32 0, v32
	s_cbranch_execz .LBB14_84
; %bb.81:                               ;   in Loop: Header=BB14_31 Depth=1
	v_mov_b32_e32 v30, 0
	v_mov_b32_e32 v31, 0
	s_mov_b64 s[0:1], 0
	s_mov_b32 s6, 0
	.p2align	6
.LBB14_82:                              ;   Parent Loop BB14_31 Depth=1
                                        ; =>  This Inner Loop Header: Depth=2
	scratch_load_u8 v33, v16, off
	v_mov_b32_e32 v34, s11
	v_add_nc_u32_e32 v32, -1, v32
	v_add_nc_u32_e32 v16, 1, v16
	s_delay_alu instid0(VALU_DEP_2) | instskip(SKIP_2) | instid1(VALU_DEP_1)
	v_cmp_eq_u32_e32 vcc_lo, 0, v32
	s_waitcnt vmcnt(0)
	v_and_b32_e32 v33, 0xffff, v33
	v_lshlrev_b64 v[33:34], s0, v[33:34]
	s_add_u32 s0, s0, 8
	s_addc_u32 s1, s1, 0
	s_or_b32 s6, vcc_lo, s6
	s_delay_alu instid0(VALU_DEP_1) | instskip(NEXT) | instid1(VALU_DEP_2)
	v_or_b32_e32 v31, v34, v31
	v_or_b32_e32 v30, v33, v30
	s_and_not1_b32 exec_lo, exec_lo, s6
	s_cbranch_execnz .LBB14_82
; %bb.83:                               ;   in Loop: Header=BB14_31 Depth=1
	s_or_b32 exec_lo, exec_lo, s6
.LBB14_84:                              ;   in Loop: Header=BB14_31 Depth=1
	s_delay_alu instid0(SALU_CYCLE_1)
	s_or_b32 exec_lo, exec_lo, s5
                                        ; implicit-def: $vgpr16
.LBB14_85:                              ;   in Loop: Header=BB14_31 Depth=1
	s_and_not1_saveexec_b32 s0, s4
	s_cbranch_execz .LBB14_87
; %bb.86:                               ;   in Loop: Header=BB14_31 Depth=1
	scratch_load_b64 v[30:31], v16, off
	s_waitcnt vmcnt(0)
	v_and_b32_e32 v16, 0xff, v31
	v_and_b32_e32 v32, 0xff00, v31
	v_and_b32_e32 v33, 0xff0000, v31
	v_and_b32_e32 v31, 0xff000000, v31
	v_or3_b32 v30, v30, 0, 0
	s_delay_alu instid0(VALU_DEP_4) | instskip(NEXT) | instid1(VALU_DEP_1)
	v_or_b32_e32 v16, v16, v32
	v_or3_b32 v31, v16, v33, v31
.LBB14_87:                              ;   in Loop: Header=BB14_31 Depth=1
	s_or_b32 exec_lo, exec_lo, s0
	v_readfirstlane_b32 s0, v48
	v_mov_b32_e32 v36, 0
	v_mov_b32_e32 v37, 0
	s_delay_alu instid0(VALU_DEP_3) | instskip(NEXT) | instid1(VALU_DEP_1)
	v_cmp_eq_u32_e64 s0, s0, v48
	s_and_saveexec_b32 s1, s0
	s_cbranch_execz .LBB14_93
; %bb.88:                               ;   in Loop: Header=BB14_31 Depth=1
	global_load_b64 v[34:35], v17, s[2:3] offset:24 glc
	s_waitcnt vmcnt(0)
	buffer_gl1_inv
	buffer_gl0_inv
	s_clause 0x1
	global_load_b64 v[32:33], v17, s[2:3] offset:40
	global_load_b64 v[36:37], v17, s[2:3]
	s_mov_b32 s4, exec_lo
	s_waitcnt vmcnt(1)
	v_and_b32_e32 v16, v33, v35
	v_and_b32_e32 v32, v32, v34
	s_delay_alu instid0(VALU_DEP_2) | instskip(NEXT) | instid1(VALU_DEP_2)
	v_mul_lo_u32 v16, v16, 24
	v_mul_hi_u32 v33, v32, 24
	v_mul_lo_u32 v32, v32, 24
	s_delay_alu instid0(VALU_DEP_2) | instskip(SKIP_1) | instid1(VALU_DEP_2)
	v_add_nc_u32_e32 v16, v33, v16
	s_waitcnt vmcnt(0)
	v_add_co_u32 v32, vcc_lo, v36, v32
	s_delay_alu instid0(VALU_DEP_2)
	v_add_co_ci_u32_e32 v33, vcc_lo, v37, v16, vcc_lo
	global_load_b64 v[32:33], v[32:33], off glc
	s_waitcnt vmcnt(0)
	global_atomic_cmpswap_b64 v[36:37], v17, v[32:35], s[2:3] offset:24 glc
	s_waitcnt vmcnt(0)
	buffer_gl1_inv
	buffer_gl0_inv
	v_cmpx_ne_u64_e64 v[36:37], v[34:35]
	s_cbranch_execz .LBB14_92
; %bb.89:                               ;   in Loop: Header=BB14_31 Depth=1
	s_mov_b32 s5, 0
	.p2align	6
.LBB14_90:                              ;   Parent Loop BB14_31 Depth=1
                                        ; =>  This Inner Loop Header: Depth=2
	s_sleep 1
	s_clause 0x1
	global_load_b64 v[32:33], v17, s[2:3] offset:40
	global_load_b64 v[49:50], v17, s[2:3]
	v_dual_mov_b32 v34, v36 :: v_dual_mov_b32 v35, v37
	s_waitcnt vmcnt(1)
	s_delay_alu instid0(VALU_DEP_1) | instskip(SKIP_1) | instid1(VALU_DEP_1)
	v_and_b32_e32 v16, v32, v34
	s_waitcnt vmcnt(0)
	v_mad_u64_u32 v[36:37], null, v16, 24, v[49:50]
	v_and_b32_e32 v49, v33, v35
	s_delay_alu instid0(VALU_DEP_2) | instskip(NEXT) | instid1(VALU_DEP_1)
	v_mov_b32_e32 v16, v37
	v_mad_u64_u32 v[32:33], null, v49, 24, v[16:17]
	s_delay_alu instid0(VALU_DEP_1)
	v_mov_b32_e32 v37, v32
	global_load_b64 v[32:33], v[36:37], off glc
	s_waitcnt vmcnt(0)
	global_atomic_cmpswap_b64 v[36:37], v17, v[32:35], s[2:3] offset:24 glc
	s_waitcnt vmcnt(0)
	buffer_gl1_inv
	buffer_gl0_inv
	v_cmp_eq_u64_e32 vcc_lo, v[36:37], v[34:35]
	s_or_b32 s5, vcc_lo, s5
	s_delay_alu instid0(SALU_CYCLE_1)
	s_and_not1_b32 exec_lo, exec_lo, s5
	s_cbranch_execnz .LBB14_90
; %bb.91:                               ;   in Loop: Header=BB14_31 Depth=1
	s_or_b32 exec_lo, exec_lo, s5
.LBB14_92:                              ;   in Loop: Header=BB14_31 Depth=1
	s_delay_alu instid0(SALU_CYCLE_1)
	s_or_b32 exec_lo, exec_lo, s4
.LBB14_93:                              ;   in Loop: Header=BB14_31 Depth=1
	s_delay_alu instid0(SALU_CYCLE_1)
	s_or_b32 exec_lo, exec_lo, s1
	s_clause 0x1
	global_load_b64 v[49:50], v17, s[2:3] offset:40
	global_load_b128 v[32:35], v17, s[2:3]
	v_readfirstlane_b32 s4, v36
	v_readfirstlane_b32 s5, v37
	s_mov_b32 s1, exec_lo
	s_waitcnt vmcnt(1)
	v_readfirstlane_b32 s6, v49
	v_readfirstlane_b32 s7, v50
	s_delay_alu instid0(VALU_DEP_1) | instskip(NEXT) | instid1(SALU_CYCLE_1)
	s_and_b64 s[6:7], s[4:5], s[6:7]
	s_mul_i32 s12, s7, 24
	s_mul_hi_u32 s13, s6, 24
	s_mul_i32 s14, s6, 24
	s_add_i32 s13, s13, s12
	s_waitcnt vmcnt(0)
	v_add_co_u32 v36, vcc_lo, v32, s14
	v_add_co_ci_u32_e32 v37, vcc_lo, s13, v33, vcc_lo
	s_and_saveexec_b32 s12, s0
	s_cbranch_execz .LBB14_95
; %bb.94:                               ;   in Loop: Header=BB14_31 Depth=1
	v_mov_b32_e32 v16, s1
	global_store_b128 v[36:37], v[16:19], off offset:8
.LBB14_95:                              ;   in Loop: Header=BB14_31 Depth=1
	s_or_b32 exec_lo, exec_lo, s12
	v_cmp_lt_u64_e32 vcc_lo, 56, v[0:1]
	v_or_b32_e32 v16, 0, v11
	v_or_b32_e32 v49, v10, v5
	v_lshl_add_u32 v50, v3, 2, 28
	s_lshl_b64 s[6:7], s[6:7], 12
	s_delay_alu instid0(SALU_CYCLE_1) | instskip(NEXT) | instid1(VALU_DEP_1)
	v_add_co_u32 v34, s1, v34, s6
	v_add_co_ci_u32_e64 v35, s1, s7, v35, s1
	v_dual_cndmask_b32 v11, v16, v11 :: v_dual_cndmask_b32 v10, v49, v10
	v_and_b32_e32 v16, 0x1e0, v50
	s_delay_alu instid0(VALU_DEP_4) | instskip(NEXT) | instid1(VALU_DEP_4)
	v_readfirstlane_b32 s6, v34
	v_readfirstlane_b32 s7, v35
	s_delay_alu instid0(VALU_DEP_3)
	v_and_or_b32 v10, 0xffffff1f, v10, v16
	s_clause 0x3
	global_store_b128 v39, v[10:13], s[6:7]
	global_store_b128 v39, v[20:23], s[6:7] offset:16
	global_store_b128 v39, v[24:27], s[6:7] offset:32
	;; [unrolled: 1-line block ×3, first 2 shown]
	s_and_saveexec_b32 s1, s0
	s_cbranch_execz .LBB14_103
; %bb.96:                               ;   in Loop: Header=BB14_31 Depth=1
	s_clause 0x1
	global_load_b64 v[24:25], v17, s[2:3] offset:32 glc
	global_load_b64 v[10:11], v17, s[2:3] offset:40
	v_dual_mov_b32 v22, s4 :: v_dual_mov_b32 v23, s5
	s_waitcnt vmcnt(0)
	v_readfirstlane_b32 s6, v10
	v_readfirstlane_b32 s7, v11
	s_delay_alu instid0(VALU_DEP_1) | instskip(NEXT) | instid1(SALU_CYCLE_1)
	s_and_b64 s[6:7], s[6:7], s[4:5]
	s_mul_i32 s7, s7, 24
	s_mul_hi_u32 s12, s6, 24
	s_mul_i32 s6, s6, 24
	s_add_i32 s12, s12, s7
	v_add_co_u32 v20, vcc_lo, v32, s6
	v_add_co_ci_u32_e32 v21, vcc_lo, s12, v33, vcc_lo
	s_mov_b32 s6, exec_lo
	global_store_b64 v[20:21], v[24:25], off
	s_waitcnt_vscnt null, 0x0
	global_atomic_cmpswap_b64 v[12:13], v17, v[22:25], s[2:3] offset:32 glc
	s_waitcnt vmcnt(0)
	v_cmpx_ne_u64_e64 v[12:13], v[24:25]
	s_cbranch_execz .LBB14_99
; %bb.97:                               ;   in Loop: Header=BB14_31 Depth=1
	s_mov_b32 s7, 0
.LBB14_98:                              ;   Parent Loop BB14_31 Depth=1
                                        ; =>  This Inner Loop Header: Depth=2
	v_dual_mov_b32 v10, s4 :: v_dual_mov_b32 v11, s5
	s_sleep 1
	global_store_b64 v[20:21], v[12:13], off
	s_waitcnt_vscnt null, 0x0
	global_atomic_cmpswap_b64 v[10:11], v17, v[10:13], s[2:3] offset:32 glc
	s_waitcnt vmcnt(0)
	v_cmp_eq_u64_e32 vcc_lo, v[10:11], v[12:13]
	v_dual_mov_b32 v13, v11 :: v_dual_mov_b32 v12, v10
	s_or_b32 s7, vcc_lo, s7
	s_delay_alu instid0(SALU_CYCLE_1)
	s_and_not1_b32 exec_lo, exec_lo, s7
	s_cbranch_execnz .LBB14_98
.LBB14_99:                              ;   in Loop: Header=BB14_31 Depth=1
	s_or_b32 exec_lo, exec_lo, s6
	global_load_b64 v[10:11], v17, s[2:3] offset:16
	s_mov_b32 s7, exec_lo
	s_mov_b32 s6, exec_lo
	v_mbcnt_lo_u32_b32 v12, s7, 0
	s_delay_alu instid0(VALU_DEP_1)
	v_cmpx_eq_u32_e32 0, v12
	s_cbranch_execz .LBB14_101
; %bb.100:                              ;   in Loop: Header=BB14_31 Depth=1
	s_bcnt1_i32_b32 s7, s7
	s_delay_alu instid0(SALU_CYCLE_1)
	v_mov_b32_e32 v16, s7
	s_waitcnt vmcnt(0)
	global_atomic_add_u64 v[10:11], v[16:17], off offset:8
.LBB14_101:                             ;   in Loop: Header=BB14_31 Depth=1
	s_or_b32 exec_lo, exec_lo, s6
	s_waitcnt vmcnt(0)
	global_load_b64 v[12:13], v[10:11], off offset:16
	s_waitcnt vmcnt(0)
	v_cmp_eq_u64_e32 vcc_lo, 0, v[12:13]
	s_cbranch_vccnz .LBB14_103
; %bb.102:                              ;   in Loop: Header=BB14_31 Depth=1
	global_load_b32 v16, v[10:11], off offset:24
	s_waitcnt vmcnt(0)
	v_and_b32_e32 v10, 0xffffff, v16
	s_waitcnt_vscnt null, 0x0
	global_store_b64 v[12:13], v[16:17], off
	v_readfirstlane_b32 m0, v10
	s_sendmsg sendmsg(MSG_INTERRUPT)
.LBB14_103:                             ;   in Loop: Header=BB14_31 Depth=1
	s_or_b32 exec_lo, exec_lo, s1
	v_add_co_u32 v10, vcc_lo, v34, v39
	v_add_co_ci_u32_e32 v11, vcc_lo, 0, v35, vcc_lo
	s_branch .LBB14_107
	.p2align	6
.LBB14_104:                             ;   in Loop: Header=BB14_107 Depth=2
	s_or_b32 exec_lo, exec_lo, s1
	s_delay_alu instid0(VALU_DEP_1) | instskip(NEXT) | instid1(VALU_DEP_1)
	v_readfirstlane_b32 s1, v12
	s_cmp_eq_u32 s1, 0
	s_cbranch_scc1 .LBB14_106
; %bb.105:                              ;   in Loop: Header=BB14_107 Depth=2
	s_sleep 1
	s_cbranch_execnz .LBB14_107
	s_branch .LBB14_109
	.p2align	6
.LBB14_106:                             ;   in Loop: Header=BB14_31 Depth=1
	s_branch .LBB14_109
.LBB14_107:                             ;   Parent Loop BB14_31 Depth=1
                                        ; =>  This Inner Loop Header: Depth=2
	v_mov_b32_e32 v12, 1
	s_and_saveexec_b32 s1, s0
	s_cbranch_execz .LBB14_104
; %bb.108:                              ;   in Loop: Header=BB14_107 Depth=2
	global_load_b32 v12, v[36:37], off offset:20 glc
	s_waitcnt vmcnt(0)
	buffer_gl1_inv
	buffer_gl0_inv
	v_and_b32_e32 v12, 1, v12
	s_branch .LBB14_104
.LBB14_109:                             ;   in Loop: Header=BB14_31 Depth=1
	global_load_b128 v[10:13], v[10:11], off
	s_and_saveexec_b32 s1, s0
	s_cbranch_execz .LBB14_30
; %bb.110:                              ;   in Loop: Header=BB14_31 Depth=1
	s_clause 0x2
	global_load_b64 v[12:13], v17, s[2:3] offset:40
	global_load_b64 v[24:25], v17, s[2:3] offset:24 glc
	global_load_b64 v[22:23], v17, s[2:3]
	s_waitcnt vmcnt(2)
	v_add_co_u32 v16, vcc_lo, v12, 1
	v_add_co_ci_u32_e32 v26, vcc_lo, 0, v13, vcc_lo
	s_delay_alu instid0(VALU_DEP_2) | instskip(NEXT) | instid1(VALU_DEP_2)
	v_add_co_u32 v20, vcc_lo, v16, s4
	v_add_co_ci_u32_e32 v21, vcc_lo, s5, v26, vcc_lo
	s_delay_alu instid0(VALU_DEP_1) | instskip(SKIP_1) | instid1(VALU_DEP_1)
	v_cmp_eq_u64_e32 vcc_lo, 0, v[20:21]
	v_dual_cndmask_b32 v21, v21, v26 :: v_dual_cndmask_b32 v20, v20, v16
	v_and_b32_e32 v13, v21, v13
	s_delay_alu instid0(VALU_DEP_2) | instskip(NEXT) | instid1(VALU_DEP_1)
	v_and_b32_e32 v12, v20, v12
	v_mul_hi_u32 v16, v12, 24
	v_mul_lo_u32 v12, v12, 24
	s_waitcnt vmcnt(0)
	s_delay_alu instid0(VALU_DEP_1) | instskip(SKIP_2) | instid1(VALU_DEP_1)
	v_add_co_u32 v12, vcc_lo, v22, v12
	v_mov_b32_e32 v22, v24
	v_mul_lo_u32 v13, v13, 24
	v_add_nc_u32_e32 v13, v16, v13
	s_delay_alu instid0(VALU_DEP_1)
	v_add_co_ci_u32_e32 v13, vcc_lo, v23, v13, vcc_lo
	v_mov_b32_e32 v23, v25
	global_store_b64 v[12:13], v[24:25], off
	s_waitcnt_vscnt null, 0x0
	global_atomic_cmpswap_b64 v[22:23], v17, v[20:23], s[2:3] offset:24 glc
	s_waitcnt vmcnt(0)
	v_cmp_ne_u64_e32 vcc_lo, v[22:23], v[24:25]
	s_and_b32 exec_lo, exec_lo, vcc_lo
	s_cbranch_execz .LBB14_30
; %bb.111:                              ;   in Loop: Header=BB14_31 Depth=1
	s_mov_b32 s0, 0
.LBB14_112:                             ;   Parent Loop BB14_31 Depth=1
                                        ; =>  This Inner Loop Header: Depth=2
	s_sleep 1
	global_store_b64 v[12:13], v[22:23], off
	s_waitcnt_vscnt null, 0x0
	global_atomic_cmpswap_b64 v[24:25], v17, v[20:23], s[2:3] offset:24 glc
	s_waitcnt vmcnt(0)
	v_cmp_eq_u64_e32 vcc_lo, v[24:25], v[22:23]
	v_dual_mov_b32 v22, v24 :: v_dual_mov_b32 v23, v25
	s_or_b32 s0, vcc_lo, s0
	s_delay_alu instid0(SALU_CYCLE_1)
	s_and_not1_b32 exec_lo, exec_lo, s0
	s_cbranch_execnz .LBB14_112
	s_branch .LBB14_30
.LBB14_113:
                                        ; implicit-def: $vgpr10_vgpr11
	s_cbranch_execnz .LBB14_115
	s_branch .LBB14_142
.LBB14_114:
	s_or_b32 exec_lo, exec_lo, s10
	s_branch .LBB14_142
.LBB14_115:
	v_readfirstlane_b32 s0, v48
	v_mov_b32_e32 v0, 0
	v_mov_b32_e32 v1, 0
	s_delay_alu instid0(VALU_DEP_3) | instskip(NEXT) | instid1(VALU_DEP_1)
	v_cmp_eq_u32_e64 s0, s0, v48
	s_and_saveexec_b32 s1, s0
	s_cbranch_execz .LBB14_121
; %bb.116:
	v_mov_b32_e32 v3, 0
	s_mov_b32 s4, exec_lo
	global_load_b64 v[12:13], v3, s[2:3] offset:24 glc
	s_waitcnt vmcnt(0)
	buffer_gl1_inv
	buffer_gl0_inv
	s_clause 0x1
	global_load_b64 v[0:1], v3, s[2:3] offset:40
	global_load_b64 v[4:5], v3, s[2:3]
	s_waitcnt vmcnt(1)
	v_and_b32_e32 v0, v0, v12
	v_and_b32_e32 v1, v1, v13
	s_delay_alu instid0(VALU_DEP_2) | instskip(NEXT) | instid1(VALU_DEP_2)
	v_mul_hi_u32 v10, v0, 24
	v_mul_lo_u32 v1, v1, 24
	v_mul_lo_u32 v0, v0, 24
	s_delay_alu instid0(VALU_DEP_2) | instskip(SKIP_1) | instid1(VALU_DEP_2)
	v_add_nc_u32_e32 v1, v10, v1
	s_waitcnt vmcnt(0)
	v_add_co_u32 v0, vcc_lo, v4, v0
	s_delay_alu instid0(VALU_DEP_2)
	v_add_co_ci_u32_e32 v1, vcc_lo, v5, v1, vcc_lo
	global_load_b64 v[10:11], v[0:1], off glc
	s_waitcnt vmcnt(0)
	global_atomic_cmpswap_b64 v[0:1], v3, v[10:13], s[2:3] offset:24 glc
	s_waitcnt vmcnt(0)
	buffer_gl1_inv
	buffer_gl0_inv
	v_cmpx_ne_u64_e64 v[0:1], v[12:13]
	s_cbranch_execz .LBB14_120
; %bb.117:
	s_mov_b32 s5, 0
	.p2align	6
.LBB14_118:                             ; =>This Inner Loop Header: Depth=1
	s_sleep 1
	s_clause 0x1
	global_load_b64 v[4:5], v3, s[2:3] offset:40
	global_load_b64 v[10:11], v3, s[2:3]
	v_dual_mov_b32 v13, v1 :: v_dual_mov_b32 v12, v0
	s_waitcnt vmcnt(1)
	s_delay_alu instid0(VALU_DEP_1) | instskip(SKIP_1) | instid1(VALU_DEP_1)
	v_and_b32_e32 v4, v4, v12
	s_waitcnt vmcnt(0)
	v_mad_u64_u32 v[0:1], null, v4, 24, v[10:11]
	v_and_b32_e32 v10, v5, v13
	s_delay_alu instid0(VALU_DEP_1) | instskip(NEXT) | instid1(VALU_DEP_1)
	v_mad_u64_u32 v[4:5], null, v10, 24, v[1:2]
	v_mov_b32_e32 v1, v4
	global_load_b64 v[10:11], v[0:1], off glc
	s_waitcnt vmcnt(0)
	global_atomic_cmpswap_b64 v[0:1], v3, v[10:13], s[2:3] offset:24 glc
	s_waitcnt vmcnt(0)
	buffer_gl1_inv
	buffer_gl0_inv
	v_cmp_eq_u64_e32 vcc_lo, v[0:1], v[12:13]
	s_or_b32 s5, vcc_lo, s5
	s_delay_alu instid0(SALU_CYCLE_1)
	s_and_not1_b32 exec_lo, exec_lo, s5
	s_cbranch_execnz .LBB14_118
; %bb.119:
	s_or_b32 exec_lo, exec_lo, s5
.LBB14_120:
	s_delay_alu instid0(SALU_CYCLE_1)
	s_or_b32 exec_lo, exec_lo, s4
.LBB14_121:
	s_delay_alu instid0(SALU_CYCLE_1)
	s_or_b32 exec_lo, exec_lo, s1
	v_mov_b32_e32 v16, 0
	v_readfirstlane_b32 s4, v0
	v_readfirstlane_b32 s5, v1
	s_mov_b32 s1, exec_lo
	s_clause 0x1
	global_load_b64 v[3:4], v16, s[2:3] offset:40
	global_load_b128 v[10:13], v16, s[2:3]
	s_waitcnt vmcnt(1)
	v_readfirstlane_b32 s6, v3
	v_readfirstlane_b32 s7, v4
	s_delay_alu instid0(VALU_DEP_1) | instskip(NEXT) | instid1(SALU_CYCLE_1)
	s_and_b64 s[6:7], s[4:5], s[6:7]
	s_mul_i32 s10, s7, 24
	s_mul_hi_u32 s11, s6, 24
	s_mul_i32 s12, s6, 24
	s_add_i32 s11, s11, s10
	s_waitcnt vmcnt(0)
	v_add_co_u32 v0, vcc_lo, v10, s12
	v_add_co_ci_u32_e32 v1, vcc_lo, s11, v11, vcc_lo
	s_and_saveexec_b32 s10, s0
	s_cbranch_execz .LBB14_123
; %bb.122:
	v_dual_mov_b32 v17, s1 :: v_dual_mov_b32 v18, v16
	v_dual_mov_b32 v19, 2 :: v_dual_mov_b32 v20, 1
	global_store_b128 v[0:1], v[17:20], off offset:8
.LBB14_123:
	s_or_b32 exec_lo, exec_lo, s10
	s_lshl_b64 s[6:7], s[6:7], 12
	s_mov_b32 s12, 0
	v_add_co_u32 v3, vcc_lo, v12, s6
	v_add_co_ci_u32_e32 v4, vcc_lo, s7, v13, vcc_lo
	s_mov_b32 s15, s12
	s_delay_alu instid0(VALU_DEP_2)
	v_readfirstlane_b32 s6, v3
	v_add_co_u32 v3, vcc_lo, v3, v39
	s_mov_b32 s13, s12
	s_mov_b32 s14, s12
	v_and_or_b32 v14, 0xffffff1f, v14, 32
	v_mov_b32_e32 v17, v16
	v_readfirstlane_b32 s7, v4
	v_dual_mov_b32 v21, s15 :: v_dual_mov_b32 v18, s12
	v_add_co_ci_u32_e32 v4, vcc_lo, 0, v4, vcc_lo
	v_dual_mov_b32 v20, s14 :: v_dual_mov_b32 v19, s13
	s_clause 0x3
	global_store_b128 v39, v[14:17], s[6:7]
	global_store_b128 v39, v[18:21], s[6:7] offset:16
	global_store_b128 v39, v[18:21], s[6:7] offset:32
	;; [unrolled: 1-line block ×3, first 2 shown]
	s_and_saveexec_b32 s1, s0
	s_cbranch_execz .LBB14_131
; %bb.124:
	v_dual_mov_b32 v5, 0 :: v_dual_mov_b32 v16, s4
	v_mov_b32_e32 v17, s5
	s_clause 0x1
	global_load_b64 v[18:19], v5, s[2:3] offset:32 glc
	global_load_b64 v[12:13], v5, s[2:3] offset:40
	s_waitcnt vmcnt(0)
	v_readfirstlane_b32 s6, v12
	v_readfirstlane_b32 s7, v13
	s_delay_alu instid0(VALU_DEP_1) | instskip(NEXT) | instid1(SALU_CYCLE_1)
	s_and_b64 s[6:7], s[6:7], s[4:5]
	s_mul_i32 s7, s7, 24
	s_mul_hi_u32 s10, s6, 24
	s_mul_i32 s6, s6, 24
	s_add_i32 s10, s10, s7
	v_add_co_u32 v14, vcc_lo, v10, s6
	v_add_co_ci_u32_e32 v15, vcc_lo, s10, v11, vcc_lo
	s_mov_b32 s6, exec_lo
	global_store_b64 v[14:15], v[18:19], off
	s_waitcnt_vscnt null, 0x0
	global_atomic_cmpswap_b64 v[12:13], v5, v[16:19], s[2:3] offset:32 glc
	s_waitcnt vmcnt(0)
	v_cmpx_ne_u64_e64 v[12:13], v[18:19]
	s_cbranch_execz .LBB14_127
; %bb.125:
	s_mov_b32 s7, 0
.LBB14_126:                             ; =>This Inner Loop Header: Depth=1
	v_dual_mov_b32 v10, s4 :: v_dual_mov_b32 v11, s5
	s_sleep 1
	global_store_b64 v[14:15], v[12:13], off
	s_waitcnt_vscnt null, 0x0
	global_atomic_cmpswap_b64 v[10:11], v5, v[10:13], s[2:3] offset:32 glc
	s_waitcnt vmcnt(0)
	v_cmp_eq_u64_e32 vcc_lo, v[10:11], v[12:13]
	v_dual_mov_b32 v13, v11 :: v_dual_mov_b32 v12, v10
	s_or_b32 s7, vcc_lo, s7
	s_delay_alu instid0(SALU_CYCLE_1)
	s_and_not1_b32 exec_lo, exec_lo, s7
	s_cbranch_execnz .LBB14_126
.LBB14_127:
	s_or_b32 exec_lo, exec_lo, s6
	v_mov_b32_e32 v13, 0
	s_mov_b32 s7, exec_lo
	s_mov_b32 s6, exec_lo
	v_mbcnt_lo_u32_b32 v5, s7, 0
	global_load_b64 v[10:11], v13, s[2:3] offset:16
	v_cmpx_eq_u32_e32 0, v5
	s_cbranch_execz .LBB14_129
; %bb.128:
	s_bcnt1_i32_b32 s7, s7
	s_delay_alu instid0(SALU_CYCLE_1)
	v_mov_b32_e32 v12, s7
	s_waitcnt vmcnt(0)
	global_atomic_add_u64 v[10:11], v[12:13], off offset:8
.LBB14_129:
	s_or_b32 exec_lo, exec_lo, s6
	s_waitcnt vmcnt(0)
	global_load_b64 v[12:13], v[10:11], off offset:16
	s_waitcnt vmcnt(0)
	v_cmp_eq_u64_e32 vcc_lo, 0, v[12:13]
	s_cbranch_vccnz .LBB14_131
; %bb.130:
	global_load_b32 v10, v[10:11], off offset:24
	v_mov_b32_e32 v11, 0
	s_waitcnt vmcnt(0)
	v_and_b32_e32 v5, 0xffffff, v10
	s_waitcnt_vscnt null, 0x0
	global_store_b64 v[12:13], v[10:11], off
	v_readfirstlane_b32 m0, v5
	s_sendmsg sendmsg(MSG_INTERRUPT)
.LBB14_131:
	s_or_b32 exec_lo, exec_lo, s1
	s_branch .LBB14_135
	.p2align	6
.LBB14_132:                             ;   in Loop: Header=BB14_135 Depth=1
	s_or_b32 exec_lo, exec_lo, s1
	s_delay_alu instid0(VALU_DEP_1) | instskip(NEXT) | instid1(VALU_DEP_1)
	v_readfirstlane_b32 s1, v5
	s_cmp_eq_u32 s1, 0
	s_cbranch_scc1 .LBB14_134
; %bb.133:                              ;   in Loop: Header=BB14_135 Depth=1
	s_sleep 1
	s_cbranch_execnz .LBB14_135
	s_branch .LBB14_137
	.p2align	6
.LBB14_134:
	s_branch .LBB14_137
.LBB14_135:                             ; =>This Inner Loop Header: Depth=1
	v_mov_b32_e32 v5, 1
	s_and_saveexec_b32 s1, s0
	s_cbranch_execz .LBB14_132
; %bb.136:                              ;   in Loop: Header=BB14_135 Depth=1
	global_load_b32 v5, v[0:1], off offset:20 glc
	s_waitcnt vmcnt(0)
	buffer_gl1_inv
	buffer_gl0_inv
	v_and_b32_e32 v5, 1, v5
	s_branch .LBB14_132
.LBB14_137:
	global_load_b64 v[10:11], v[3:4], off
	s_and_saveexec_b32 s1, s0
	s_cbranch_execz .LBB14_141
; %bb.138:
	v_mov_b32_e32 v3, 0
	s_clause 0x2
	global_load_b64 v[0:1], v3, s[2:3] offset:40
	global_load_b64 v[4:5], v3, s[2:3] offset:24 glc
	global_load_b64 v[14:15], v3, s[2:3]
	s_waitcnt vmcnt(2)
	v_add_co_u32 v16, vcc_lo, v0, 1
	v_add_co_ci_u32_e32 v17, vcc_lo, 0, v1, vcc_lo
	s_delay_alu instid0(VALU_DEP_2) | instskip(NEXT) | instid1(VALU_DEP_2)
	v_add_co_u32 v12, vcc_lo, v16, s4
	v_add_co_ci_u32_e32 v13, vcc_lo, s5, v17, vcc_lo
	s_delay_alu instid0(VALU_DEP_1) | instskip(SKIP_1) | instid1(VALU_DEP_1)
	v_cmp_eq_u64_e32 vcc_lo, 0, v[12:13]
	v_dual_cndmask_b32 v12, v12, v16 :: v_dual_cndmask_b32 v13, v13, v17
	v_and_b32_e32 v0, v12, v0
	s_delay_alu instid0(VALU_DEP_2) | instskip(NEXT) | instid1(VALU_DEP_2)
	v_and_b32_e32 v1, v13, v1
	v_mul_hi_u32 v16, v0, 24
	v_mul_lo_u32 v0, v0, 24
	s_waitcnt vmcnt(0)
	s_delay_alu instid0(VALU_DEP_1) | instskip(SKIP_2) | instid1(VALU_DEP_1)
	v_add_co_u32 v0, vcc_lo, v14, v0
	v_mov_b32_e32 v14, v4
	v_mul_lo_u32 v1, v1, 24
	v_add_nc_u32_e32 v1, v16, v1
	s_delay_alu instid0(VALU_DEP_1)
	v_add_co_ci_u32_e32 v1, vcc_lo, v15, v1, vcc_lo
	v_mov_b32_e32 v15, v5
	global_store_b64 v[0:1], v[4:5], off
	s_waitcnt_vscnt null, 0x0
	global_atomic_cmpswap_b64 v[14:15], v3, v[12:15], s[2:3] offset:24 glc
	s_waitcnt vmcnt(0)
	v_cmp_ne_u64_e32 vcc_lo, v[14:15], v[4:5]
	s_and_b32 exec_lo, exec_lo, vcc_lo
	s_cbranch_execz .LBB14_141
; %bb.139:
	s_mov_b32 s0, 0
.LBB14_140:                             ; =>This Inner Loop Header: Depth=1
	s_sleep 1
	global_store_b64 v[0:1], v[14:15], off
	s_waitcnt_vscnt null, 0x0
	global_atomic_cmpswap_b64 v[4:5], v3, v[12:15], s[2:3] offset:24 glc
	s_waitcnt vmcnt(0)
	v_cmp_eq_u64_e32 vcc_lo, v[4:5], v[14:15]
	v_dual_mov_b32 v15, v5 :: v_dual_mov_b32 v14, v4
	s_or_b32 s0, vcc_lo, s0
	s_delay_alu instid0(SALU_CYCLE_1)
	s_and_not1_b32 exec_lo, exec_lo, s0
	s_cbranch_execnz .LBB14_140
.LBB14_141:
	s_or_b32 exec_lo, exec_lo, s1
.LBB14_142:
	s_getpc_b64 s[4:5]
	s_add_u32 s4, s4, .str.4@rel32@lo+4
	s_addc_u32 s5, s5, .str.4@rel32@hi+12
	s_delay_alu instid0(SALU_CYCLE_1)
	s_cmp_lg_u64 s[4:5], 0
	s_cbranch_scc0 .LBB14_220
; %bb.143:
	s_getpc_b64 s[0:1]
	s_add_u32 s0, s0, .str.4@rel32@lo+95
	s_addc_u32 s1, s1, .str.4@rel32@hi+103
	s_waitcnt vmcnt(0)
	v_dual_mov_b32 v16, 0 :: v_dual_and_b32 v5, 2, v10
	v_dual_mov_b32 v13, v11 :: v_dual_and_b32 v12, -3, v10
	v_dual_mov_b32 v17, 2 :: v_dual_mov_b32 v18, 1
	s_sub_i32 s6, s0, s4
	s_delay_alu instid0(SALU_CYCLE_1)
	s_ashr_i32 s7, s6, 31
	s_branch .LBB14_145
.LBB14_144:                             ;   in Loop: Header=BB14_145 Depth=1
	s_or_b32 exec_lo, exec_lo, s1
	s_sub_u32 s6, s6, s10
	s_subb_u32 s7, s7, s11
	s_add_u32 s4, s4, s10
	s_addc_u32 s5, s5, s11
	s_cmp_lg_u64 s[6:7], 0
	s_cbranch_scc0 .LBB14_221
.LBB14_145:                             ; =>This Loop Header: Depth=1
                                        ;     Child Loop BB14_154 Depth 2
                                        ;     Child Loop BB14_150 Depth 2
	;; [unrolled: 1-line block ×11, first 2 shown]
	v_cmp_lt_u64_e64 s0, s[6:7], 56
	v_cmp_gt_u64_e64 s1, s[6:7], 7
                                        ; implicit-def: $vgpr21_vgpr22
                                        ; implicit-def: $sgpr16
	s_delay_alu instid0(VALU_DEP_2) | instskip(SKIP_2) | instid1(VALU_DEP_1)
	s_and_b32 s0, s0, exec_lo
	s_cselect_b32 s11, s7, 0
	s_cselect_b32 s10, s6, 56
	s_and_b32 vcc_lo, exec_lo, s1
	s_mov_b32 s0, -1
	s_cbranch_vccz .LBB14_152
; %bb.146:                              ;   in Loop: Header=BB14_145 Depth=1
	s_and_not1_b32 vcc_lo, exec_lo, s0
	s_mov_b64 s[0:1], s[4:5]
	s_cbranch_vccz .LBB14_156
.LBB14_147:                             ;   in Loop: Header=BB14_145 Depth=1
	s_cmp_gt_u32 s16, 7
	s_cbranch_scc1 .LBB14_157
.LBB14_148:                             ;   in Loop: Header=BB14_145 Depth=1
	v_mov_b32_e32 v23, 0
	v_mov_b32_e32 v24, 0
	s_cmp_eq_u32 s16, 0
	s_cbranch_scc1 .LBB14_151
; %bb.149:                              ;   in Loop: Header=BB14_145 Depth=1
	s_mov_b64 s[12:13], 0
	s_mov_b64 s[14:15], 0
.LBB14_150:                             ;   Parent Loop BB14_145 Depth=1
                                        ; =>  This Inner Loop Header: Depth=2
	s_delay_alu instid0(SALU_CYCLE_1)
	s_add_u32 s18, s0, s14
	s_addc_u32 s19, s1, s15
	s_add_u32 s14, s14, 1
	global_load_u8 v0, v16, s[18:19]
	s_addc_u32 s15, s15, 0
	s_waitcnt vmcnt(0)
	v_and_b32_e32 v15, 0xffff, v0
	s_delay_alu instid0(VALU_DEP_1) | instskip(SKIP_3) | instid1(VALU_DEP_1)
	v_lshlrev_b64 v[0:1], s12, v[15:16]
	s_add_u32 s12, s12, 8
	s_addc_u32 s13, s13, 0
	s_cmp_lg_u32 s16, s14
	v_or_b32_e32 v23, v0, v23
	s_delay_alu instid0(VALU_DEP_2)
	v_or_b32_e32 v24, v1, v24
	s_cbranch_scc1 .LBB14_150
.LBB14_151:                             ;   in Loop: Header=BB14_145 Depth=1
	s_mov_b32 s17, 0
	s_cbranch_execz .LBB14_158
	s_branch .LBB14_159
.LBB14_152:                             ;   in Loop: Header=BB14_145 Depth=1
	v_mov_b32_e32 v21, 0
	v_mov_b32_e32 v22, 0
	s_cmp_eq_u64 s[6:7], 0
	s_mov_b64 s[0:1], 0
	s_cbranch_scc1 .LBB14_155
; %bb.153:                              ;   in Loop: Header=BB14_145 Depth=1
	v_mov_b32_e32 v21, 0
	v_mov_b32_e32 v22, 0
	s_lshl_b64 s[12:13], s[10:11], 3
	s_mov_b64 s[14:15], s[4:5]
.LBB14_154:                             ;   Parent Loop BB14_145 Depth=1
                                        ; =>  This Inner Loop Header: Depth=2
	global_load_u8 v0, v16, s[14:15]
	s_waitcnt vmcnt(0)
	v_and_b32_e32 v15, 0xffff, v0
	s_delay_alu instid0(VALU_DEP_1)
	v_lshlrev_b64 v[0:1], s0, v[15:16]
	s_add_u32 s0, s0, 8
	s_addc_u32 s1, s1, 0
	s_add_u32 s14, s14, 1
	s_addc_u32 s15, s15, 0
	s_cmp_lg_u32 s12, s0
	v_or_b32_e32 v21, v0, v21
	v_or_b32_e32 v22, v1, v22
	s_cbranch_scc1 .LBB14_154
.LBB14_155:                             ;   in Loop: Header=BB14_145 Depth=1
	s_mov_b32 s16, 0
	s_mov_b64 s[0:1], s[4:5]
	s_cbranch_execnz .LBB14_147
.LBB14_156:                             ;   in Loop: Header=BB14_145 Depth=1
	global_load_b64 v[21:22], v16, s[4:5]
	s_add_i32 s16, s10, -8
	s_add_u32 s0, s4, 8
	s_addc_u32 s1, s5, 0
	s_cmp_gt_u32 s16, 7
	s_cbranch_scc0 .LBB14_148
.LBB14_157:                             ;   in Loop: Header=BB14_145 Depth=1
                                        ; implicit-def: $vgpr23_vgpr24
                                        ; implicit-def: $sgpr17
.LBB14_158:                             ;   in Loop: Header=BB14_145 Depth=1
	global_load_b64 v[23:24], v16, s[0:1]
	s_add_i32 s17, s16, -8
	s_add_u32 s0, s0, 8
	s_addc_u32 s1, s1, 0
.LBB14_159:                             ;   in Loop: Header=BB14_145 Depth=1
	s_cmp_gt_u32 s17, 7
	s_cbranch_scc1 .LBB14_164
; %bb.160:                              ;   in Loop: Header=BB14_145 Depth=1
	v_mov_b32_e32 v25, 0
	v_mov_b32_e32 v26, 0
	s_cmp_eq_u32 s17, 0
	s_cbranch_scc1 .LBB14_163
; %bb.161:                              ;   in Loop: Header=BB14_145 Depth=1
	s_mov_b64 s[12:13], 0
	s_mov_b64 s[14:15], 0
.LBB14_162:                             ;   Parent Loop BB14_145 Depth=1
                                        ; =>  This Inner Loop Header: Depth=2
	s_delay_alu instid0(SALU_CYCLE_1)
	s_add_u32 s18, s0, s14
	s_addc_u32 s19, s1, s15
	s_add_u32 s14, s14, 1
	global_load_u8 v0, v16, s[18:19]
	s_addc_u32 s15, s15, 0
	s_waitcnt vmcnt(0)
	v_and_b32_e32 v15, 0xffff, v0
	s_delay_alu instid0(VALU_DEP_1) | instskip(SKIP_3) | instid1(VALU_DEP_1)
	v_lshlrev_b64 v[0:1], s12, v[15:16]
	s_add_u32 s12, s12, 8
	s_addc_u32 s13, s13, 0
	s_cmp_lg_u32 s17, s14
	v_or_b32_e32 v25, v0, v25
	s_delay_alu instid0(VALU_DEP_2)
	v_or_b32_e32 v26, v1, v26
	s_cbranch_scc1 .LBB14_162
.LBB14_163:                             ;   in Loop: Header=BB14_145 Depth=1
	s_mov_b32 s16, 0
	s_cbranch_execz .LBB14_165
	s_branch .LBB14_166
.LBB14_164:                             ;   in Loop: Header=BB14_145 Depth=1
                                        ; implicit-def: $sgpr16
.LBB14_165:                             ;   in Loop: Header=BB14_145 Depth=1
	global_load_b64 v[25:26], v16, s[0:1]
	s_add_i32 s16, s17, -8
	s_add_u32 s0, s0, 8
	s_addc_u32 s1, s1, 0
.LBB14_166:                             ;   in Loop: Header=BB14_145 Depth=1
	s_cmp_gt_u32 s16, 7
	s_cbranch_scc1 .LBB14_171
; %bb.167:                              ;   in Loop: Header=BB14_145 Depth=1
	v_mov_b32_e32 v27, 0
	v_mov_b32_e32 v28, 0
	s_cmp_eq_u32 s16, 0
	s_cbranch_scc1 .LBB14_170
; %bb.168:                              ;   in Loop: Header=BB14_145 Depth=1
	s_mov_b64 s[12:13], 0
	s_mov_b64 s[14:15], 0
.LBB14_169:                             ;   Parent Loop BB14_145 Depth=1
                                        ; =>  This Inner Loop Header: Depth=2
	s_delay_alu instid0(SALU_CYCLE_1)
	s_add_u32 s18, s0, s14
	s_addc_u32 s19, s1, s15
	s_add_u32 s14, s14, 1
	global_load_u8 v0, v16, s[18:19]
	s_addc_u32 s15, s15, 0
	s_waitcnt vmcnt(0)
	v_and_b32_e32 v15, 0xffff, v0
	s_delay_alu instid0(VALU_DEP_1) | instskip(SKIP_3) | instid1(VALU_DEP_1)
	v_lshlrev_b64 v[0:1], s12, v[15:16]
	s_add_u32 s12, s12, 8
	s_addc_u32 s13, s13, 0
	s_cmp_lg_u32 s16, s14
	v_or_b32_e32 v27, v0, v27
	s_delay_alu instid0(VALU_DEP_2)
	v_or_b32_e32 v28, v1, v28
	s_cbranch_scc1 .LBB14_169
.LBB14_170:                             ;   in Loop: Header=BB14_145 Depth=1
	s_mov_b32 s17, 0
	s_cbranch_execz .LBB14_172
	s_branch .LBB14_173
.LBB14_171:                             ;   in Loop: Header=BB14_145 Depth=1
                                        ; implicit-def: $vgpr27_vgpr28
                                        ; implicit-def: $sgpr17
.LBB14_172:                             ;   in Loop: Header=BB14_145 Depth=1
	global_load_b64 v[27:28], v16, s[0:1]
	s_add_i32 s17, s16, -8
	s_add_u32 s0, s0, 8
	s_addc_u32 s1, s1, 0
.LBB14_173:                             ;   in Loop: Header=BB14_145 Depth=1
	s_cmp_gt_u32 s17, 7
	s_cbranch_scc1 .LBB14_178
; %bb.174:                              ;   in Loop: Header=BB14_145 Depth=1
	v_mov_b32_e32 v29, 0
	v_mov_b32_e32 v30, 0
	s_cmp_eq_u32 s17, 0
	s_cbranch_scc1 .LBB14_177
; %bb.175:                              ;   in Loop: Header=BB14_145 Depth=1
	s_mov_b64 s[12:13], 0
	s_mov_b64 s[14:15], 0
.LBB14_176:                             ;   Parent Loop BB14_145 Depth=1
                                        ; =>  This Inner Loop Header: Depth=2
	s_delay_alu instid0(SALU_CYCLE_1)
	s_add_u32 s18, s0, s14
	s_addc_u32 s19, s1, s15
	s_add_u32 s14, s14, 1
	global_load_u8 v0, v16, s[18:19]
	s_addc_u32 s15, s15, 0
	s_waitcnt vmcnt(0)
	v_and_b32_e32 v15, 0xffff, v0
	s_delay_alu instid0(VALU_DEP_1) | instskip(SKIP_3) | instid1(VALU_DEP_1)
	v_lshlrev_b64 v[0:1], s12, v[15:16]
	s_add_u32 s12, s12, 8
	s_addc_u32 s13, s13, 0
	s_cmp_lg_u32 s17, s14
	v_or_b32_e32 v29, v0, v29
	s_delay_alu instid0(VALU_DEP_2)
	v_or_b32_e32 v30, v1, v30
	s_cbranch_scc1 .LBB14_176
.LBB14_177:                             ;   in Loop: Header=BB14_145 Depth=1
	s_mov_b32 s16, 0
	s_cbranch_execz .LBB14_179
	s_branch .LBB14_180
.LBB14_178:                             ;   in Loop: Header=BB14_145 Depth=1
                                        ; implicit-def: $sgpr16
.LBB14_179:                             ;   in Loop: Header=BB14_145 Depth=1
	global_load_b64 v[29:30], v16, s[0:1]
	s_add_i32 s16, s17, -8
	s_add_u32 s0, s0, 8
	s_addc_u32 s1, s1, 0
.LBB14_180:                             ;   in Loop: Header=BB14_145 Depth=1
	s_cmp_gt_u32 s16, 7
	s_cbranch_scc1 .LBB14_185
; %bb.181:                              ;   in Loop: Header=BB14_145 Depth=1
	v_mov_b32_e32 v31, 0
	v_mov_b32_e32 v32, 0
	s_cmp_eq_u32 s16, 0
	s_cbranch_scc1 .LBB14_184
; %bb.182:                              ;   in Loop: Header=BB14_145 Depth=1
	s_mov_b64 s[12:13], 0
	s_mov_b64 s[14:15], 0
.LBB14_183:                             ;   Parent Loop BB14_145 Depth=1
                                        ; =>  This Inner Loop Header: Depth=2
	s_delay_alu instid0(SALU_CYCLE_1)
	s_add_u32 s18, s0, s14
	s_addc_u32 s19, s1, s15
	s_add_u32 s14, s14, 1
	global_load_u8 v0, v16, s[18:19]
	s_addc_u32 s15, s15, 0
	s_waitcnt vmcnt(0)
	v_and_b32_e32 v15, 0xffff, v0
	s_delay_alu instid0(VALU_DEP_1) | instskip(SKIP_3) | instid1(VALU_DEP_1)
	v_lshlrev_b64 v[0:1], s12, v[15:16]
	s_add_u32 s12, s12, 8
	s_addc_u32 s13, s13, 0
	s_cmp_lg_u32 s16, s14
	v_or_b32_e32 v31, v0, v31
	s_delay_alu instid0(VALU_DEP_2)
	v_or_b32_e32 v32, v1, v32
	s_cbranch_scc1 .LBB14_183
.LBB14_184:                             ;   in Loop: Header=BB14_145 Depth=1
	s_mov_b32 s17, 0
	s_cbranch_execz .LBB14_186
	s_branch .LBB14_187
.LBB14_185:                             ;   in Loop: Header=BB14_145 Depth=1
                                        ; implicit-def: $vgpr31_vgpr32
                                        ; implicit-def: $sgpr17
.LBB14_186:                             ;   in Loop: Header=BB14_145 Depth=1
	global_load_b64 v[31:32], v16, s[0:1]
	s_add_i32 s17, s16, -8
	s_add_u32 s0, s0, 8
	s_addc_u32 s1, s1, 0
.LBB14_187:                             ;   in Loop: Header=BB14_145 Depth=1
	s_cmp_gt_u32 s17, 7
	s_cbranch_scc1 .LBB14_192
; %bb.188:                              ;   in Loop: Header=BB14_145 Depth=1
	v_mov_b32_e32 v33, 0
	v_mov_b32_e32 v34, 0
	s_cmp_eq_u32 s17, 0
	s_cbranch_scc1 .LBB14_191
; %bb.189:                              ;   in Loop: Header=BB14_145 Depth=1
	s_mov_b64 s[12:13], 0
	s_mov_b64 s[14:15], s[0:1]
.LBB14_190:                             ;   Parent Loop BB14_145 Depth=1
                                        ; =>  This Inner Loop Header: Depth=2
	global_load_u8 v0, v16, s[14:15]
	s_add_i32 s17, s17, -1
	s_waitcnt vmcnt(0)
	v_and_b32_e32 v15, 0xffff, v0
	s_delay_alu instid0(VALU_DEP_1)
	v_lshlrev_b64 v[0:1], s12, v[15:16]
	s_add_u32 s12, s12, 8
	s_addc_u32 s13, s13, 0
	s_add_u32 s14, s14, 1
	s_addc_u32 s15, s15, 0
	s_cmp_lg_u32 s17, 0
	v_or_b32_e32 v33, v0, v33
	v_or_b32_e32 v34, v1, v34
	s_cbranch_scc1 .LBB14_190
.LBB14_191:                             ;   in Loop: Header=BB14_145 Depth=1
	s_cbranch_execz .LBB14_193
	s_branch .LBB14_194
.LBB14_192:                             ;   in Loop: Header=BB14_145 Depth=1
.LBB14_193:                             ;   in Loop: Header=BB14_145 Depth=1
	global_load_b64 v[33:34], v16, s[0:1]
.LBB14_194:                             ;   in Loop: Header=BB14_145 Depth=1
	v_readfirstlane_b32 s0, v48
	v_mov_b32_e32 v0, 0
	v_mov_b32_e32 v1, 0
	s_delay_alu instid0(VALU_DEP_3) | instskip(NEXT) | instid1(VALU_DEP_1)
	v_cmp_eq_u32_e64 s0, s0, v48
	s_and_saveexec_b32 s1, s0
	s_cbranch_execz .LBB14_200
; %bb.195:                              ;   in Loop: Header=BB14_145 Depth=1
	global_load_b64 v[37:38], v16, s[2:3] offset:24 glc
	s_waitcnt vmcnt(0)
	buffer_gl1_inv
	buffer_gl0_inv
	s_clause 0x1
	global_load_b64 v[0:1], v16, s[2:3] offset:40
	global_load_b64 v[3:4], v16, s[2:3]
	s_mov_b32 s12, exec_lo
	s_waitcnt vmcnt(1)
	v_and_b32_e32 v1, v1, v38
	v_and_b32_e32 v0, v0, v37
	s_delay_alu instid0(VALU_DEP_2) | instskip(NEXT) | instid1(VALU_DEP_2)
	v_mul_lo_u32 v1, v1, 24
	v_mul_hi_u32 v14, v0, 24
	v_mul_lo_u32 v0, v0, 24
	s_delay_alu instid0(VALU_DEP_2) | instskip(SKIP_1) | instid1(VALU_DEP_2)
	v_add_nc_u32_e32 v1, v14, v1
	s_waitcnt vmcnt(0)
	v_add_co_u32 v0, vcc_lo, v3, v0
	s_delay_alu instid0(VALU_DEP_2)
	v_add_co_ci_u32_e32 v1, vcc_lo, v4, v1, vcc_lo
	global_load_b64 v[35:36], v[0:1], off glc
	s_waitcnt vmcnt(0)
	global_atomic_cmpswap_b64 v[0:1], v16, v[35:38], s[2:3] offset:24 glc
	s_waitcnt vmcnt(0)
	buffer_gl1_inv
	buffer_gl0_inv
	v_cmpx_ne_u64_e64 v[0:1], v[37:38]
	s_cbranch_execz .LBB14_199
; %bb.196:                              ;   in Loop: Header=BB14_145 Depth=1
	s_mov_b32 s13, 0
	.p2align	6
.LBB14_197:                             ;   Parent Loop BB14_145 Depth=1
                                        ; =>  This Inner Loop Header: Depth=2
	s_sleep 1
	s_clause 0x1
	global_load_b64 v[3:4], v16, s[2:3] offset:40
	global_load_b64 v[14:15], v16, s[2:3]
	v_dual_mov_b32 v38, v1 :: v_dual_mov_b32 v37, v0
	s_waitcnt vmcnt(1)
	s_delay_alu instid0(VALU_DEP_1) | instskip(SKIP_1) | instid1(VALU_DEP_1)
	v_and_b32_e32 v3, v3, v37
	s_waitcnt vmcnt(0)
	v_mad_u64_u32 v[0:1], null, v3, 24, v[14:15]
	v_and_b32_e32 v14, v4, v38
	s_delay_alu instid0(VALU_DEP_1) | instskip(NEXT) | instid1(VALU_DEP_1)
	v_mad_u64_u32 v[3:4], null, v14, 24, v[1:2]
	v_mov_b32_e32 v1, v3
	global_load_b64 v[35:36], v[0:1], off glc
	s_waitcnt vmcnt(0)
	global_atomic_cmpswap_b64 v[0:1], v16, v[35:38], s[2:3] offset:24 glc
	s_waitcnt vmcnt(0)
	buffer_gl1_inv
	buffer_gl0_inv
	v_cmp_eq_u64_e32 vcc_lo, v[0:1], v[37:38]
	s_or_b32 s13, vcc_lo, s13
	s_delay_alu instid0(SALU_CYCLE_1)
	s_and_not1_b32 exec_lo, exec_lo, s13
	s_cbranch_execnz .LBB14_197
; %bb.198:                              ;   in Loop: Header=BB14_145 Depth=1
	s_or_b32 exec_lo, exec_lo, s13
.LBB14_199:                             ;   in Loop: Header=BB14_145 Depth=1
	s_delay_alu instid0(SALU_CYCLE_1)
	s_or_b32 exec_lo, exec_lo, s12
.LBB14_200:                             ;   in Loop: Header=BB14_145 Depth=1
	s_delay_alu instid0(SALU_CYCLE_1)
	s_or_b32 exec_lo, exec_lo, s1
	s_clause 0x1
	global_load_b64 v[3:4], v16, s[2:3] offset:40
	global_load_b128 v[35:38], v16, s[2:3]
	v_readfirstlane_b32 s12, v0
	v_readfirstlane_b32 s13, v1
	s_mov_b32 s1, exec_lo
	s_waitcnt vmcnt(1)
	v_readfirstlane_b32 s14, v3
	v_readfirstlane_b32 s15, v4
	s_delay_alu instid0(VALU_DEP_1) | instskip(NEXT) | instid1(SALU_CYCLE_1)
	s_and_b64 s[14:15], s[12:13], s[14:15]
	s_mul_i32 s16, s15, 24
	s_mul_hi_u32 s17, s14, 24
	s_mul_i32 s18, s14, 24
	s_add_i32 s17, s17, s16
	s_waitcnt vmcnt(0)
	v_add_co_u32 v0, vcc_lo, v35, s18
	v_add_co_ci_u32_e32 v1, vcc_lo, s17, v36, vcc_lo
	s_and_saveexec_b32 s16, s0
	s_cbranch_execz .LBB14_202
; %bb.201:                              ;   in Loop: Header=BB14_145 Depth=1
	v_mov_b32_e32 v15, s1
	global_store_b128 v[0:1], v[15:18], off offset:8
.LBB14_202:                             ;   in Loop: Header=BB14_145 Depth=1
	s_or_b32 exec_lo, exec_lo, s16
	s_lshl_b64 s[14:15], s[14:15], 12
	v_cmp_gt_u64_e64 vcc_lo, s[6:7], 56
	v_or_b32_e32 v3, 0, v13
	v_or_b32_e32 v4, v12, v5
	v_add_co_u32 v37, s1, v37, s14
	s_delay_alu instid0(VALU_DEP_1) | instskip(SKIP_1) | instid1(VALU_DEP_3)
	v_add_co_ci_u32_e64 v38, s1, s15, v38, s1
	s_lshl_b32 s1, s10, 2
	v_dual_cndmask_b32 v20, v3, v13 :: v_dual_cndmask_b32 v3, v4, v12
	s_add_i32 s1, s1, 28
	v_readfirstlane_b32 s14, v37
	s_and_b32 s1, s1, 0x1e0
	v_readfirstlane_b32 s15, v38
	v_and_or_b32 v19, 0xffffff1f, v3, s1
	s_clause 0x3
	global_store_b128 v39, v[19:22], s[14:15]
	global_store_b128 v39, v[23:26], s[14:15] offset:16
	global_store_b128 v39, v[27:30], s[14:15] offset:32
	;; [unrolled: 1-line block ×3, first 2 shown]
	s_and_saveexec_b32 s1, s0
	s_cbranch_execz .LBB14_210
; %bb.203:                              ;   in Loop: Header=BB14_145 Depth=1
	s_clause 0x1
	global_load_b64 v[21:22], v16, s[2:3] offset:32 glc
	global_load_b64 v[3:4], v16, s[2:3] offset:40
	v_dual_mov_b32 v19, s12 :: v_dual_mov_b32 v20, s13
	s_waitcnt vmcnt(0)
	v_readfirstlane_b32 s14, v3
	v_readfirstlane_b32 s15, v4
	s_delay_alu instid0(VALU_DEP_1) | instskip(NEXT) | instid1(SALU_CYCLE_1)
	s_and_b64 s[14:15], s[14:15], s[12:13]
	s_mul_i32 s15, s15, 24
	s_mul_hi_u32 s16, s14, 24
	s_mul_i32 s14, s14, 24
	s_add_i32 s16, s16, s15
	v_add_co_u32 v3, vcc_lo, v35, s14
	v_add_co_ci_u32_e32 v4, vcc_lo, s16, v36, vcc_lo
	s_mov_b32 s14, exec_lo
	global_store_b64 v[3:4], v[21:22], off
	s_waitcnt_vscnt null, 0x0
	global_atomic_cmpswap_b64 v[14:15], v16, v[19:22], s[2:3] offset:32 glc
	s_waitcnt vmcnt(0)
	v_cmpx_ne_u64_e64 v[14:15], v[21:22]
	s_cbranch_execz .LBB14_206
; %bb.204:                              ;   in Loop: Header=BB14_145 Depth=1
	s_mov_b32 s15, 0
.LBB14_205:                             ;   Parent Loop BB14_145 Depth=1
                                        ; =>  This Inner Loop Header: Depth=2
	v_dual_mov_b32 v12, s12 :: v_dual_mov_b32 v13, s13
	s_sleep 1
	global_store_b64 v[3:4], v[14:15], off
	s_waitcnt_vscnt null, 0x0
	global_atomic_cmpswap_b64 v[12:13], v16, v[12:15], s[2:3] offset:32 glc
	s_waitcnt vmcnt(0)
	v_cmp_eq_u64_e32 vcc_lo, v[12:13], v[14:15]
	v_dual_mov_b32 v15, v13 :: v_dual_mov_b32 v14, v12
	s_or_b32 s15, vcc_lo, s15
	s_delay_alu instid0(SALU_CYCLE_1)
	s_and_not1_b32 exec_lo, exec_lo, s15
	s_cbranch_execnz .LBB14_205
.LBB14_206:                             ;   in Loop: Header=BB14_145 Depth=1
	s_or_b32 exec_lo, exec_lo, s14
	global_load_b64 v[3:4], v16, s[2:3] offset:16
	s_mov_b32 s15, exec_lo
	s_mov_b32 s14, exec_lo
	v_mbcnt_lo_u32_b32 v12, s15, 0
	s_delay_alu instid0(VALU_DEP_1)
	v_cmpx_eq_u32_e32 0, v12
	s_cbranch_execz .LBB14_208
; %bb.207:                              ;   in Loop: Header=BB14_145 Depth=1
	s_bcnt1_i32_b32 s15, s15
	s_delay_alu instid0(SALU_CYCLE_1)
	v_mov_b32_e32 v15, s15
	s_waitcnt vmcnt(0)
	global_atomic_add_u64 v[3:4], v[15:16], off offset:8
.LBB14_208:                             ;   in Loop: Header=BB14_145 Depth=1
	s_or_b32 exec_lo, exec_lo, s14
	s_waitcnt vmcnt(0)
	global_load_b64 v[12:13], v[3:4], off offset:16
	s_waitcnt vmcnt(0)
	v_cmp_eq_u64_e32 vcc_lo, 0, v[12:13]
	s_cbranch_vccnz .LBB14_210
; %bb.209:                              ;   in Loop: Header=BB14_145 Depth=1
	global_load_b32 v15, v[3:4], off offset:24
	s_waitcnt vmcnt(0)
	v_and_b32_e32 v3, 0xffffff, v15
	s_waitcnt_vscnt null, 0x0
	global_store_b64 v[12:13], v[15:16], off
	v_readfirstlane_b32 m0, v3
	s_sendmsg sendmsg(MSG_INTERRUPT)
.LBB14_210:                             ;   in Loop: Header=BB14_145 Depth=1
	s_or_b32 exec_lo, exec_lo, s1
	v_add_co_u32 v3, vcc_lo, v37, v39
	v_add_co_ci_u32_e32 v4, vcc_lo, 0, v38, vcc_lo
	s_branch .LBB14_214
	.p2align	6
.LBB14_211:                             ;   in Loop: Header=BB14_214 Depth=2
	s_or_b32 exec_lo, exec_lo, s1
	s_delay_alu instid0(VALU_DEP_1) | instskip(NEXT) | instid1(VALU_DEP_1)
	v_readfirstlane_b32 s1, v12
	s_cmp_eq_u32 s1, 0
	s_cbranch_scc1 .LBB14_213
; %bb.212:                              ;   in Loop: Header=BB14_214 Depth=2
	s_sleep 1
	s_cbranch_execnz .LBB14_214
	s_branch .LBB14_216
	.p2align	6
.LBB14_213:                             ;   in Loop: Header=BB14_145 Depth=1
	s_branch .LBB14_216
.LBB14_214:                             ;   Parent Loop BB14_145 Depth=1
                                        ; =>  This Inner Loop Header: Depth=2
	v_mov_b32_e32 v12, 1
	s_and_saveexec_b32 s1, s0
	s_cbranch_execz .LBB14_211
; %bb.215:                              ;   in Loop: Header=BB14_214 Depth=2
	global_load_b32 v12, v[0:1], off offset:20 glc
	s_waitcnt vmcnt(0)
	buffer_gl1_inv
	buffer_gl0_inv
	v_and_b32_e32 v12, 1, v12
	s_branch .LBB14_211
.LBB14_216:                             ;   in Loop: Header=BB14_145 Depth=1
	global_load_b128 v[12:15], v[3:4], off
	s_and_saveexec_b32 s1, s0
	s_cbranch_execz .LBB14_144
; %bb.217:                              ;   in Loop: Header=BB14_145 Depth=1
	s_clause 0x2
	global_load_b64 v[0:1], v16, s[2:3] offset:40
	global_load_b64 v[3:4], v16, s[2:3] offset:24 glc
	global_load_b64 v[14:15], v16, s[2:3]
	s_waitcnt vmcnt(2)
	v_add_co_u32 v21, vcc_lo, v0, 1
	v_add_co_ci_u32_e32 v22, vcc_lo, 0, v1, vcc_lo
	s_delay_alu instid0(VALU_DEP_2) | instskip(NEXT) | instid1(VALU_DEP_2)
	v_add_co_u32 v19, vcc_lo, v21, s12
	v_add_co_ci_u32_e32 v20, vcc_lo, s13, v22, vcc_lo
	s_delay_alu instid0(VALU_DEP_1) | instskip(SKIP_3) | instid1(VALU_DEP_2)
	v_cmp_eq_u64_e32 vcc_lo, 0, v[19:20]
	v_dual_cndmask_b32 v20, v20, v22 :: v_dual_cndmask_b32 v19, v19, v21
	s_waitcnt vmcnt(1)
	v_mov_b32_e32 v22, v4
	v_and_b32_e32 v1, v20, v1
	s_delay_alu instid0(VALU_DEP_3) | instskip(NEXT) | instid1(VALU_DEP_2)
	v_and_b32_e32 v0, v19, v0
	v_mul_lo_u32 v1, v1, 24
	s_delay_alu instid0(VALU_DEP_2) | instskip(SKIP_1) | instid1(VALU_DEP_2)
	v_mul_hi_u32 v21, v0, 24
	v_mul_lo_u32 v0, v0, 24
	v_add_nc_u32_e32 v1, v21, v1
	s_waitcnt vmcnt(0)
	s_delay_alu instid0(VALU_DEP_2) | instskip(SKIP_1) | instid1(VALU_DEP_3)
	v_add_co_u32 v0, vcc_lo, v14, v0
	v_mov_b32_e32 v21, v3
	v_add_co_ci_u32_e32 v1, vcc_lo, v15, v1, vcc_lo
	global_store_b64 v[0:1], v[3:4], off
	s_waitcnt_vscnt null, 0x0
	global_atomic_cmpswap_b64 v[21:22], v16, v[19:22], s[2:3] offset:24 glc
	s_waitcnt vmcnt(0)
	v_cmp_ne_u64_e32 vcc_lo, v[21:22], v[3:4]
	s_and_b32 exec_lo, exec_lo, vcc_lo
	s_cbranch_execz .LBB14_144
; %bb.218:                              ;   in Loop: Header=BB14_145 Depth=1
	s_mov_b32 s0, 0
.LBB14_219:                             ;   Parent Loop BB14_145 Depth=1
                                        ; =>  This Inner Loop Header: Depth=2
	s_sleep 1
	global_store_b64 v[0:1], v[21:22], off
	s_waitcnt_vscnt null, 0x0
	global_atomic_cmpswap_b64 v[3:4], v16, v[19:22], s[2:3] offset:24 glc
	s_waitcnt vmcnt(0)
	v_cmp_eq_u64_e32 vcc_lo, v[3:4], v[21:22]
	v_dual_mov_b32 v22, v4 :: v_dual_mov_b32 v21, v3
	s_or_b32 s0, vcc_lo, s0
	s_delay_alu instid0(SALU_CYCLE_1)
	s_and_not1_b32 exec_lo, exec_lo, s0
	s_cbranch_execnz .LBB14_219
	s_branch .LBB14_144
.LBB14_220:
                                        ; implicit-def: $vgpr12_vgpr13
	s_cbranch_execnz .LBB14_222
	s_branch .LBB14_249
.LBB14_221:
	s_branch .LBB14_249
.LBB14_222:
	v_readfirstlane_b32 s0, v48
	v_mov_b32_e32 v0, 0
	v_mov_b32_e32 v1, 0
	s_delay_alu instid0(VALU_DEP_3) | instskip(NEXT) | instid1(VALU_DEP_1)
	v_cmp_eq_u32_e64 s0, s0, v48
	s_and_saveexec_b32 s1, s0
	s_cbranch_execz .LBB14_228
; %bb.223:
	v_mov_b32_e32 v3, 0
	s_mov_b32 s4, exec_lo
	global_load_b64 v[14:15], v3, s[2:3] offset:24 glc
	s_waitcnt vmcnt(0)
	buffer_gl1_inv
	buffer_gl0_inv
	s_clause 0x1
	global_load_b64 v[0:1], v3, s[2:3] offset:40
	global_load_b64 v[4:5], v3, s[2:3]
	s_waitcnt vmcnt(1)
	v_and_b32_e32 v0, v0, v14
	v_and_b32_e32 v1, v1, v15
	s_delay_alu instid0(VALU_DEP_2) | instskip(NEXT) | instid1(VALU_DEP_2)
	v_mul_hi_u32 v12, v0, 24
	v_mul_lo_u32 v1, v1, 24
	v_mul_lo_u32 v0, v0, 24
	s_delay_alu instid0(VALU_DEP_2) | instskip(SKIP_1) | instid1(VALU_DEP_2)
	v_add_nc_u32_e32 v1, v12, v1
	s_waitcnt vmcnt(0)
	v_add_co_u32 v0, vcc_lo, v4, v0
	s_delay_alu instid0(VALU_DEP_2)
	v_add_co_ci_u32_e32 v1, vcc_lo, v5, v1, vcc_lo
	global_load_b64 v[12:13], v[0:1], off glc
	s_waitcnt vmcnt(0)
	global_atomic_cmpswap_b64 v[0:1], v3, v[12:15], s[2:3] offset:24 glc
	s_waitcnt vmcnt(0)
	buffer_gl1_inv
	buffer_gl0_inv
	v_cmpx_ne_u64_e64 v[0:1], v[14:15]
	s_cbranch_execz .LBB14_227
; %bb.224:
	s_mov_b32 s5, 0
	.p2align	6
.LBB14_225:                             ; =>This Inner Loop Header: Depth=1
	s_sleep 1
	s_clause 0x1
	global_load_b64 v[4:5], v3, s[2:3] offset:40
	global_load_b64 v[12:13], v3, s[2:3]
	v_dual_mov_b32 v15, v1 :: v_dual_mov_b32 v14, v0
	s_waitcnt vmcnt(1)
	s_delay_alu instid0(VALU_DEP_1) | instskip(SKIP_1) | instid1(VALU_DEP_1)
	v_and_b32_e32 v4, v4, v14
	s_waitcnt vmcnt(0)
	v_mad_u64_u32 v[0:1], null, v4, 24, v[12:13]
	v_and_b32_e32 v12, v5, v15
	s_delay_alu instid0(VALU_DEP_1) | instskip(NEXT) | instid1(VALU_DEP_1)
	v_mad_u64_u32 v[4:5], null, v12, 24, v[1:2]
	v_mov_b32_e32 v1, v4
	global_load_b64 v[12:13], v[0:1], off glc
	s_waitcnt vmcnt(0)
	global_atomic_cmpswap_b64 v[0:1], v3, v[12:15], s[2:3] offset:24 glc
	s_waitcnt vmcnt(0)
	buffer_gl1_inv
	buffer_gl0_inv
	v_cmp_eq_u64_e32 vcc_lo, v[0:1], v[14:15]
	s_or_b32 s5, vcc_lo, s5
	s_delay_alu instid0(SALU_CYCLE_1)
	s_and_not1_b32 exec_lo, exec_lo, s5
	s_cbranch_execnz .LBB14_225
; %bb.226:
	s_or_b32 exec_lo, exec_lo, s5
.LBB14_227:
	s_delay_alu instid0(SALU_CYCLE_1)
	s_or_b32 exec_lo, exec_lo, s4
.LBB14_228:
	s_delay_alu instid0(SALU_CYCLE_1)
	s_or_b32 exec_lo, exec_lo, s1
	s_waitcnt vmcnt(0)
	v_mov_b32_e32 v12, 0
	v_readfirstlane_b32 s4, v0
	v_readfirstlane_b32 s5, v1
	s_mov_b32 s1, exec_lo
	s_clause 0x1
	global_load_b64 v[3:4], v12, s[2:3] offset:40
	global_load_b128 v[14:17], v12, s[2:3]
	s_waitcnt vmcnt(1)
	v_readfirstlane_b32 s6, v3
	v_readfirstlane_b32 s7, v4
	s_delay_alu instid0(VALU_DEP_1) | instskip(NEXT) | instid1(SALU_CYCLE_1)
	s_and_b64 s[6:7], s[4:5], s[6:7]
	s_mul_i32 s10, s7, 24
	s_mul_hi_u32 s11, s6, 24
	s_mul_i32 s12, s6, 24
	s_add_i32 s11, s11, s10
	s_waitcnt vmcnt(0)
	v_add_co_u32 v0, vcc_lo, v14, s12
	v_add_co_ci_u32_e32 v1, vcc_lo, s11, v15, vcc_lo
	s_and_saveexec_b32 s10, s0
	s_cbranch_execz .LBB14_230
; %bb.229:
	v_dual_mov_b32 v18, s1 :: v_dual_mov_b32 v19, v12
	v_dual_mov_b32 v20, 2 :: v_dual_mov_b32 v21, 1
	global_store_b128 v[0:1], v[18:21], off offset:8
.LBB14_230:
	s_or_b32 exec_lo, exec_lo, s10
	s_lshl_b64 s[6:7], s[6:7], 12
	s_mov_b32 s12, 0
	v_add_co_u32 v3, vcc_lo, v16, s6
	v_add_co_ci_u32_e32 v4, vcc_lo, s7, v17, vcc_lo
	s_mov_b32 s15, s12
	s_delay_alu instid0(VALU_DEP_2)
	v_readfirstlane_b32 s6, v3
	v_add_co_u32 v3, vcc_lo, v3, v39
	s_mov_b32 s13, s12
	s_mov_b32 s14, s12
	v_and_or_b32 v10, 0xffffff1f, v10, 32
	v_mov_b32_e32 v13, v12
	v_readfirstlane_b32 s7, v4
	v_dual_mov_b32 v19, s15 :: v_dual_mov_b32 v16, s12
	v_add_co_ci_u32_e32 v4, vcc_lo, 0, v4, vcc_lo
	v_dual_mov_b32 v18, s14 :: v_dual_mov_b32 v17, s13
	s_clause 0x3
	global_store_b128 v39, v[10:13], s[6:7]
	global_store_b128 v39, v[16:19], s[6:7] offset:16
	global_store_b128 v39, v[16:19], s[6:7] offset:32
	;; [unrolled: 1-line block ×3, first 2 shown]
	s_and_saveexec_b32 s1, s0
	s_cbranch_execz .LBB14_238
; %bb.231:
	v_dual_mov_b32 v5, 0 :: v_dual_mov_b32 v16, s4
	v_mov_b32_e32 v17, s5
	s_clause 0x1
	global_load_b64 v[18:19], v5, s[2:3] offset:32 glc
	global_load_b64 v[10:11], v5, s[2:3] offset:40
	s_waitcnt vmcnt(0)
	v_readfirstlane_b32 s6, v10
	v_readfirstlane_b32 s7, v11
	s_delay_alu instid0(VALU_DEP_1) | instskip(NEXT) | instid1(SALU_CYCLE_1)
	s_and_b64 s[6:7], s[6:7], s[4:5]
	s_mul_i32 s7, s7, 24
	s_mul_hi_u32 s10, s6, 24
	s_mul_i32 s6, s6, 24
	s_add_i32 s10, s10, s7
	v_add_co_u32 v14, vcc_lo, v14, s6
	v_add_co_ci_u32_e32 v15, vcc_lo, s10, v15, vcc_lo
	s_mov_b32 s6, exec_lo
	global_store_b64 v[14:15], v[18:19], off
	s_waitcnt_vscnt null, 0x0
	global_atomic_cmpswap_b64 v[12:13], v5, v[16:19], s[2:3] offset:32 glc
	s_waitcnt vmcnt(0)
	v_cmpx_ne_u64_e64 v[12:13], v[18:19]
	s_cbranch_execz .LBB14_234
; %bb.232:
	s_mov_b32 s7, 0
.LBB14_233:                             ; =>This Inner Loop Header: Depth=1
	v_dual_mov_b32 v10, s4 :: v_dual_mov_b32 v11, s5
	s_sleep 1
	global_store_b64 v[14:15], v[12:13], off
	s_waitcnt_vscnt null, 0x0
	global_atomic_cmpswap_b64 v[10:11], v5, v[10:13], s[2:3] offset:32 glc
	s_waitcnt vmcnt(0)
	v_cmp_eq_u64_e32 vcc_lo, v[10:11], v[12:13]
	v_dual_mov_b32 v13, v11 :: v_dual_mov_b32 v12, v10
	s_or_b32 s7, vcc_lo, s7
	s_delay_alu instid0(SALU_CYCLE_1)
	s_and_not1_b32 exec_lo, exec_lo, s7
	s_cbranch_execnz .LBB14_233
.LBB14_234:
	s_or_b32 exec_lo, exec_lo, s6
	v_mov_b32_e32 v13, 0
	s_mov_b32 s7, exec_lo
	s_mov_b32 s6, exec_lo
	v_mbcnt_lo_u32_b32 v5, s7, 0
	global_load_b64 v[10:11], v13, s[2:3] offset:16
	v_cmpx_eq_u32_e32 0, v5
	s_cbranch_execz .LBB14_236
; %bb.235:
	s_bcnt1_i32_b32 s7, s7
	s_delay_alu instid0(SALU_CYCLE_1)
	v_mov_b32_e32 v12, s7
	s_waitcnt vmcnt(0)
	global_atomic_add_u64 v[10:11], v[12:13], off offset:8
.LBB14_236:
	s_or_b32 exec_lo, exec_lo, s6
	s_waitcnt vmcnt(0)
	global_load_b64 v[12:13], v[10:11], off offset:16
	s_waitcnt vmcnt(0)
	v_cmp_eq_u64_e32 vcc_lo, 0, v[12:13]
	s_cbranch_vccnz .LBB14_238
; %bb.237:
	global_load_b32 v10, v[10:11], off offset:24
	v_mov_b32_e32 v11, 0
	s_waitcnt vmcnt(0)
	v_and_b32_e32 v5, 0xffffff, v10
	s_waitcnt_vscnt null, 0x0
	global_store_b64 v[12:13], v[10:11], off
	v_readfirstlane_b32 m0, v5
	s_sendmsg sendmsg(MSG_INTERRUPT)
.LBB14_238:
	s_or_b32 exec_lo, exec_lo, s1
	s_branch .LBB14_242
	.p2align	6
.LBB14_239:                             ;   in Loop: Header=BB14_242 Depth=1
	s_or_b32 exec_lo, exec_lo, s1
	s_delay_alu instid0(VALU_DEP_1) | instskip(NEXT) | instid1(VALU_DEP_1)
	v_readfirstlane_b32 s1, v5
	s_cmp_eq_u32 s1, 0
	s_cbranch_scc1 .LBB14_241
; %bb.240:                              ;   in Loop: Header=BB14_242 Depth=1
	s_sleep 1
	s_cbranch_execnz .LBB14_242
	s_branch .LBB14_244
	.p2align	6
.LBB14_241:
	s_branch .LBB14_244
.LBB14_242:                             ; =>This Inner Loop Header: Depth=1
	v_mov_b32_e32 v5, 1
	s_and_saveexec_b32 s1, s0
	s_cbranch_execz .LBB14_239
; %bb.243:                              ;   in Loop: Header=BB14_242 Depth=1
	global_load_b32 v5, v[0:1], off offset:20 glc
	s_waitcnt vmcnt(0)
	buffer_gl1_inv
	buffer_gl0_inv
	v_and_b32_e32 v5, 1, v5
	s_branch .LBB14_239
.LBB14_244:
	global_load_b64 v[12:13], v[3:4], off
	s_and_saveexec_b32 s1, s0
	s_cbranch_execz .LBB14_248
; %bb.245:
	v_mov_b32_e32 v3, 0
	s_clause 0x2
	global_load_b64 v[0:1], v3, s[2:3] offset:40
	global_load_b64 v[4:5], v3, s[2:3] offset:24 glc
	global_load_b64 v[10:11], v3, s[2:3]
	s_waitcnt vmcnt(2)
	v_add_co_u32 v16, vcc_lo, v0, 1
	v_add_co_ci_u32_e32 v17, vcc_lo, 0, v1, vcc_lo
	s_delay_alu instid0(VALU_DEP_2) | instskip(NEXT) | instid1(VALU_DEP_2)
	v_add_co_u32 v14, vcc_lo, v16, s4
	v_add_co_ci_u32_e32 v15, vcc_lo, s5, v17, vcc_lo
	s_delay_alu instid0(VALU_DEP_1) | instskip(SKIP_2) | instid1(VALU_DEP_1)
	v_cmp_eq_u64_e32 vcc_lo, 0, v[14:15]
	v_dual_cndmask_b32 v14, v14, v16 :: v_dual_cndmask_b32 v15, v15, v17
	s_waitcnt vmcnt(1)
	v_dual_mov_b32 v17, v5 :: v_dual_and_b32 v0, v14, v0
	s_delay_alu instid0(VALU_DEP_2) | instskip(NEXT) | instid1(VALU_DEP_2)
	v_and_b32_e32 v1, v15, v1
	v_mul_hi_u32 v16, v0, 24
	s_delay_alu instid0(VALU_DEP_2) | instskip(SKIP_1) | instid1(VALU_DEP_2)
	v_mul_lo_u32 v1, v1, 24
	v_mul_lo_u32 v0, v0, 24
	v_add_nc_u32_e32 v1, v16, v1
	v_mov_b32_e32 v16, v4
	s_waitcnt vmcnt(0)
	s_delay_alu instid0(VALU_DEP_3) | instskip(NEXT) | instid1(VALU_DEP_3)
	v_add_co_u32 v0, vcc_lo, v10, v0
	v_add_co_ci_u32_e32 v1, vcc_lo, v11, v1, vcc_lo
	global_store_b64 v[0:1], v[4:5], off
	s_waitcnt_vscnt null, 0x0
	global_atomic_cmpswap_b64 v[16:17], v3, v[14:17], s[2:3] offset:24 glc
	s_waitcnt vmcnt(0)
	v_cmp_ne_u64_e32 vcc_lo, v[16:17], v[4:5]
	s_and_b32 exec_lo, exec_lo, vcc_lo
	s_cbranch_execz .LBB14_248
; %bb.246:
	s_mov_b32 s0, 0
.LBB14_247:                             ; =>This Inner Loop Header: Depth=1
	s_sleep 1
	global_store_b64 v[0:1], v[16:17], off
	s_waitcnt_vscnt null, 0x0
	global_atomic_cmpswap_b64 v[4:5], v3, v[14:17], s[2:3] offset:24 glc
	s_waitcnt vmcnt(0)
	v_cmp_eq_u64_e32 vcc_lo, v[4:5], v[16:17]
	v_dual_mov_b32 v17, v5 :: v_dual_mov_b32 v16, v4
	s_or_b32 s0, vcc_lo, s0
	s_delay_alu instid0(SALU_CYCLE_1)
	s_and_not1_b32 exec_lo, exec_lo, s0
	s_cbranch_execnz .LBB14_247
.LBB14_248:
	s_or_b32 exec_lo, exec_lo, s1
.LBB14_249:
	v_readfirstlane_b32 s0, v48
	v_mov_b32_e32 v0, 0
	v_mov_b32_e32 v1, 0
	s_delay_alu instid0(VALU_DEP_3) | instskip(NEXT) | instid1(VALU_DEP_1)
	v_cmp_eq_u32_e64 s0, s0, v48
	s_and_saveexec_b32 s1, s0
	s_cbranch_execz .LBB14_255
; %bb.250:
	v_mov_b32_e32 v3, 0
	s_mov_b32 s4, exec_lo
	global_load_b64 v[16:17], v3, s[2:3] offset:24 glc
	s_waitcnt vmcnt(0)
	buffer_gl1_inv
	buffer_gl0_inv
	s_clause 0x1
	global_load_b64 v[0:1], v3, s[2:3] offset:40
	global_load_b64 v[4:5], v3, s[2:3]
	s_waitcnt vmcnt(1)
	v_and_b32_e32 v0, v0, v16
	v_and_b32_e32 v1, v1, v17
	s_delay_alu instid0(VALU_DEP_2) | instskip(NEXT) | instid1(VALU_DEP_2)
	v_mul_hi_u32 v10, v0, 24
	v_mul_lo_u32 v1, v1, 24
	v_mul_lo_u32 v0, v0, 24
	s_delay_alu instid0(VALU_DEP_2) | instskip(SKIP_1) | instid1(VALU_DEP_2)
	v_add_nc_u32_e32 v1, v10, v1
	s_waitcnt vmcnt(0)
	v_add_co_u32 v0, vcc_lo, v4, v0
	s_delay_alu instid0(VALU_DEP_2)
	v_add_co_ci_u32_e32 v1, vcc_lo, v5, v1, vcc_lo
	global_load_b64 v[14:15], v[0:1], off glc
	s_waitcnt vmcnt(0)
	global_atomic_cmpswap_b64 v[0:1], v3, v[14:17], s[2:3] offset:24 glc
	s_waitcnt vmcnt(0)
	buffer_gl1_inv
	buffer_gl0_inv
	v_cmpx_ne_u64_e64 v[0:1], v[16:17]
	s_cbranch_execz .LBB14_254
; %bb.251:
	s_mov_b32 s5, 0
	.p2align	6
.LBB14_252:                             ; =>This Inner Loop Header: Depth=1
	s_sleep 1
	s_clause 0x1
	global_load_b64 v[4:5], v3, s[2:3] offset:40
	global_load_b64 v[10:11], v3, s[2:3]
	v_dual_mov_b32 v17, v1 :: v_dual_mov_b32 v16, v0
	s_waitcnt vmcnt(1)
	s_delay_alu instid0(VALU_DEP_1) | instskip(SKIP_1) | instid1(VALU_DEP_1)
	v_and_b32_e32 v4, v4, v16
	s_waitcnt vmcnt(0)
	v_mad_u64_u32 v[0:1], null, v4, 24, v[10:11]
	v_and_b32_e32 v10, v5, v17
	s_delay_alu instid0(VALU_DEP_1) | instskip(NEXT) | instid1(VALU_DEP_1)
	v_mad_u64_u32 v[4:5], null, v10, 24, v[1:2]
	v_mov_b32_e32 v1, v4
	global_load_b64 v[14:15], v[0:1], off glc
	s_waitcnt vmcnt(0)
	global_atomic_cmpswap_b64 v[0:1], v3, v[14:17], s[2:3] offset:24 glc
	s_waitcnt vmcnt(0)
	buffer_gl1_inv
	buffer_gl0_inv
	v_cmp_eq_u64_e32 vcc_lo, v[0:1], v[16:17]
	s_or_b32 s5, vcc_lo, s5
	s_delay_alu instid0(SALU_CYCLE_1)
	s_and_not1_b32 exec_lo, exec_lo, s5
	s_cbranch_execnz .LBB14_252
; %bb.253:
	s_or_b32 exec_lo, exec_lo, s5
.LBB14_254:
	s_delay_alu instid0(SALU_CYCLE_1)
	s_or_b32 exec_lo, exec_lo, s4
.LBB14_255:
	s_delay_alu instid0(SALU_CYCLE_1)
	s_or_b32 exec_lo, exec_lo, s1
	s_waitcnt vmcnt(0)
	v_mov_b32_e32 v15, 0
	v_readfirstlane_b32 s4, v0
	v_readfirstlane_b32 s5, v1
	s_mov_b32 s1, exec_lo
	s_clause 0x1
	global_load_b64 v[3:4], v15, s[2:3] offset:40
	global_load_b128 v[16:19], v15, s[2:3]
	s_waitcnt vmcnt(1)
	v_readfirstlane_b32 s6, v3
	v_readfirstlane_b32 s7, v4
	s_delay_alu instid0(VALU_DEP_1) | instskip(NEXT) | instid1(SALU_CYCLE_1)
	s_and_b64 s[6:7], s[4:5], s[6:7]
	s_mul_i32 s10, s7, 24
	s_mul_hi_u32 s11, s6, 24
	s_mul_i32 s12, s6, 24
	s_add_i32 s11, s11, s10
	s_waitcnt vmcnt(0)
	v_add_co_u32 v4, vcc_lo, v16, s12
	v_add_co_ci_u32_e32 v5, vcc_lo, s11, v17, vcc_lo
	s_and_saveexec_b32 s10, s0
	s_cbranch_execz .LBB14_257
; %bb.256:
	v_dual_mov_b32 v14, s1 :: v_dual_mov_b32 v23, 1
	v_dual_mov_b32 v22, 2 :: v_dual_mov_b32 v21, v15
	s_delay_alu instid0(VALU_DEP_2)
	v_mov_b32_e32 v20, v14
	global_store_b128 v[4:5], v[20:23], off offset:8
.LBB14_257:
	s_or_b32 exec_lo, exec_lo, s10
	s_lshl_b64 s[6:7], s[6:7], 12
	s_mov_b32 s12, 0
	v_add_co_u32 v10, vcc_lo, v18, s6
	v_add_co_ci_u32_e32 v11, vcc_lo, s7, v19, vcc_lo
	s_mov_b32 s13, s12
	s_delay_alu instid0(VALU_DEP_2)
	v_readfirstlane_b32 s6, v10
	v_add_co_u32 v10, vcc_lo, v10, v39
	s_mov_b32 s14, s12
	s_mov_b32 s15, s12
	v_and_or_b32 v12, 0xffffff1f, v12, 32
	v_mov_b32_e32 v14, v2
	v_readfirstlane_b32 s7, v11
	v_dual_mov_b32 v0, s12 :: v_dual_mov_b32 v3, s15
	v_add_co_ci_u32_e32 v11, vcc_lo, 0, v11, vcc_lo
	v_dual_mov_b32 v1, s13 :: v_dual_mov_b32 v2, s14
	s_clause 0x3
	global_store_b128 v39, v[12:15], s[6:7]
	global_store_b128 v39, v[0:3], s[6:7] offset:16
	global_store_b128 v39, v[0:3], s[6:7] offset:32
	global_store_b128 v39, v[0:3], s[6:7] offset:48
	s_and_saveexec_b32 s1, s0
	s_cbranch_execz .LBB14_265
; %bb.258:
	v_mov_b32_e32 v14, 0
	s_clause 0x1
	global_load_b64 v[18:19], v14, s[2:3] offset:32 glc
	global_load_b64 v[0:1], v14, s[2:3] offset:40
	s_waitcnt vmcnt(0)
	v_readfirstlane_b32 s6, v0
	v_readfirstlane_b32 s7, v1
	s_delay_alu instid0(VALU_DEP_1) | instskip(NEXT) | instid1(SALU_CYCLE_1)
	s_and_b64 s[6:7], s[6:7], s[4:5]
	s_mul_i32 s7, s7, 24
	s_mul_hi_u32 s10, s6, 24
	s_mul_i32 s6, s6, 24
	s_add_i32 s10, s10, s7
	v_add_co_u32 v12, vcc_lo, v16, s6
	v_add_co_ci_u32_e32 v13, vcc_lo, s10, v17, vcc_lo
	v_dual_mov_b32 v17, s5 :: v_dual_mov_b32 v16, s4
	s_mov_b32 s6, exec_lo
	global_store_b64 v[12:13], v[18:19], off
	s_waitcnt_vscnt null, 0x0
	global_atomic_cmpswap_b64 v[2:3], v14, v[16:19], s[2:3] offset:32 glc
	s_waitcnt vmcnt(0)
	v_cmpx_ne_u64_e64 v[2:3], v[18:19]
	s_cbranch_execz .LBB14_261
; %bb.259:
	s_mov_b32 s7, 0
.LBB14_260:                             ; =>This Inner Loop Header: Depth=1
	v_dual_mov_b32 v0, s4 :: v_dual_mov_b32 v1, s5
	s_sleep 1
	global_store_b64 v[12:13], v[2:3], off
	s_waitcnt_vscnt null, 0x0
	global_atomic_cmpswap_b64 v[0:1], v14, v[0:3], s[2:3] offset:32 glc
	s_waitcnt vmcnt(0)
	v_cmp_eq_u64_e32 vcc_lo, v[0:1], v[2:3]
	v_dual_mov_b32 v3, v1 :: v_dual_mov_b32 v2, v0
	s_or_b32 s7, vcc_lo, s7
	s_delay_alu instid0(SALU_CYCLE_1)
	s_and_not1_b32 exec_lo, exec_lo, s7
	s_cbranch_execnz .LBB14_260
.LBB14_261:
	s_or_b32 exec_lo, exec_lo, s6
	v_mov_b32_e32 v3, 0
	s_mov_b32 s7, exec_lo
	s_mov_b32 s6, exec_lo
	v_mbcnt_lo_u32_b32 v2, s7, 0
	global_load_b64 v[0:1], v3, s[2:3] offset:16
	v_cmpx_eq_u32_e32 0, v2
	s_cbranch_execz .LBB14_263
; %bb.262:
	s_bcnt1_i32_b32 s7, s7
	s_delay_alu instid0(SALU_CYCLE_1)
	v_mov_b32_e32 v2, s7
	s_waitcnt vmcnt(0)
	global_atomic_add_u64 v[0:1], v[2:3], off offset:8
.LBB14_263:
	s_or_b32 exec_lo, exec_lo, s6
	s_waitcnt vmcnt(0)
	global_load_b64 v[2:3], v[0:1], off offset:16
	s_waitcnt vmcnt(0)
	v_cmp_eq_u64_e32 vcc_lo, 0, v[2:3]
	s_cbranch_vccnz .LBB14_265
; %bb.264:
	global_load_b32 v0, v[0:1], off offset:24
	s_waitcnt vmcnt(0)
	v_dual_mov_b32 v1, 0 :: v_dual_and_b32 v12, 0xffffff, v0
	s_waitcnt_vscnt null, 0x0
	global_store_b64 v[2:3], v[0:1], off
	v_readfirstlane_b32 m0, v12
	s_sendmsg sendmsg(MSG_INTERRUPT)
.LBB14_265:
	s_or_b32 exec_lo, exec_lo, s1
	s_branch .LBB14_269
	.p2align	6
.LBB14_266:                             ;   in Loop: Header=BB14_269 Depth=1
	s_or_b32 exec_lo, exec_lo, s1
	s_delay_alu instid0(VALU_DEP_1) | instskip(NEXT) | instid1(VALU_DEP_1)
	v_readfirstlane_b32 s1, v0
	s_cmp_eq_u32 s1, 0
	s_cbranch_scc1 .LBB14_268
; %bb.267:                              ;   in Loop: Header=BB14_269 Depth=1
	s_sleep 1
	s_cbranch_execnz .LBB14_269
	s_branch .LBB14_271
	.p2align	6
.LBB14_268:
	s_branch .LBB14_271
.LBB14_269:                             ; =>This Inner Loop Header: Depth=1
	v_mov_b32_e32 v0, 1
	s_and_saveexec_b32 s1, s0
	s_cbranch_execz .LBB14_266
; %bb.270:                              ;   in Loop: Header=BB14_269 Depth=1
	global_load_b32 v0, v[4:5], off offset:20 glc
	s_waitcnt vmcnt(0)
	buffer_gl1_inv
	buffer_gl0_inv
	v_and_b32_e32 v0, 1, v0
	s_branch .LBB14_266
.LBB14_271:
	global_load_b64 v[0:1], v[10:11], off
	s_and_saveexec_b32 s1, s0
	s_cbranch_execz .LBB14_275
; %bb.272:
	v_mov_b32_e32 v12, 0
	s_clause 0x2
	global_load_b64 v[4:5], v12, s[2:3] offset:40
	global_load_b64 v[13:14], v12, s[2:3] offset:24 glc
	global_load_b64 v[10:11], v12, s[2:3]
	s_waitcnt vmcnt(2)
	v_add_co_u32 v15, vcc_lo, v4, 1
	v_add_co_ci_u32_e32 v16, vcc_lo, 0, v5, vcc_lo
	s_delay_alu instid0(VALU_DEP_2) | instskip(NEXT) | instid1(VALU_DEP_2)
	v_add_co_u32 v2, vcc_lo, v15, s4
	v_add_co_ci_u32_e32 v3, vcc_lo, s5, v16, vcc_lo
	s_delay_alu instid0(VALU_DEP_1) | instskip(SKIP_1) | instid1(VALU_DEP_1)
	v_cmp_eq_u64_e32 vcc_lo, 0, v[2:3]
	v_dual_cndmask_b32 v3, v3, v16 :: v_dual_cndmask_b32 v2, v2, v15
	v_and_b32_e32 v5, v3, v5
	s_delay_alu instid0(VALU_DEP_2) | instskip(NEXT) | instid1(VALU_DEP_2)
	v_and_b32_e32 v4, v2, v4
	v_mul_lo_u32 v5, v5, 24
	s_delay_alu instid0(VALU_DEP_2) | instskip(SKIP_1) | instid1(VALU_DEP_2)
	v_mul_hi_u32 v15, v4, 24
	v_mul_lo_u32 v4, v4, 24
	v_add_nc_u32_e32 v5, v15, v5
	s_waitcnt vmcnt(0)
	s_delay_alu instid0(VALU_DEP_2) | instskip(SKIP_1) | instid1(VALU_DEP_3)
	v_add_co_u32 v10, vcc_lo, v10, v4
	v_mov_b32_e32 v4, v13
	v_add_co_ci_u32_e32 v11, vcc_lo, v11, v5, vcc_lo
	v_mov_b32_e32 v5, v14
	global_store_b64 v[10:11], v[13:14], off
	s_waitcnt_vscnt null, 0x0
	global_atomic_cmpswap_b64 v[4:5], v12, v[2:5], s[2:3] offset:24 glc
	s_waitcnt vmcnt(0)
	v_cmp_ne_u64_e32 vcc_lo, v[4:5], v[13:14]
	s_and_b32 exec_lo, exec_lo, vcc_lo
	s_cbranch_execz .LBB14_275
; %bb.273:
	s_mov_b32 s0, 0
.LBB14_274:                             ; =>This Inner Loop Header: Depth=1
	s_sleep 1
	global_store_b64 v[10:11], v[4:5], off
	s_waitcnt_vscnt null, 0x0
	global_atomic_cmpswap_b64 v[13:14], v12, v[2:5], s[2:3] offset:24 glc
	s_waitcnt vmcnt(0)
	v_cmp_eq_u64_e32 vcc_lo, v[13:14], v[4:5]
	v_dual_mov_b32 v4, v13 :: v_dual_mov_b32 v5, v14
	s_or_b32 s0, vcc_lo, s0
	s_delay_alu instid0(SALU_CYCLE_1)
	s_and_not1_b32 exec_lo, exec_lo, s0
	s_cbranch_execnz .LBB14_274
.LBB14_275:
	s_or_b32 exec_lo, exec_lo, s1
	v_dual_mov_b32 v3, v6 :: v_dual_mov_b32 v4, v7
	s_mov_b32 s0, 0
.LBB14_276:                             ; =>This Inner Loop Header: Depth=1
	flat_load_u8 v5, v[3:4]
	v_add_co_u32 v2, vcc_lo, v3, 1
	v_add_co_ci_u32_e32 v3, vcc_lo, 0, v4, vcc_lo
	s_delay_alu instid0(VALU_DEP_1) | instskip(NEXT) | instid1(VALU_DEP_3)
	v_mov_b32_e32 v4, v3
	v_mov_b32_e32 v3, v2
	s_waitcnt vmcnt(0) lgkmcnt(0)
	v_cmp_eq_u16_e32 vcc_lo, 0, v5
	s_or_b32 s0, vcc_lo, s0
	s_delay_alu instid0(SALU_CYCLE_1)
	s_and_not1_b32 exec_lo, exec_lo, s0
	s_cbranch_execnz .LBB14_276
; %bb.277:
	s_or_b32 exec_lo, exec_lo, s0
	s_delay_alu instid0(SALU_CYCLE_1)
	s_mov_b32 s0, exec_lo
	v_cmpx_ne_u64_e32 0, v[6:7]
	s_xor_b32 s10, exec_lo, s0
	s_cbranch_execz .LBB14_363
; %bb.278:
	v_sub_nc_u32_e32 v30, v2, v6
	v_dual_mov_b32 v11, 0 :: v_dual_and_b32 v34, 2, v0
	v_dual_mov_b32 v13, 1 :: v_dual_and_b32 v0, -3, v0
	v_mov_b32_e32 v12, 2
	s_delay_alu instid0(VALU_DEP_4)
	v_ashrrev_i32_e32 v31, 31, v30
	s_mov_b32 s12, 0
	s_mov_b32 s11, 0
	s_branch .LBB14_280
.LBB14_279:                             ;   in Loop: Header=BB14_280 Depth=1
	s_or_b32 exec_lo, exec_lo, s1
	v_sub_co_u32 v30, vcc_lo, v30, v32
	v_sub_co_ci_u32_e32 v31, vcc_lo, v31, v33, vcc_lo
	v_add_co_u32 v6, s0, v6, v32
	s_delay_alu instid0(VALU_DEP_1) | instskip(NEXT) | instid1(VALU_DEP_3)
	v_add_co_ci_u32_e64 v7, s0, v7, v33, s0
	v_cmp_eq_u64_e32 vcc_lo, 0, v[30:31]
	s_or_b32 s11, vcc_lo, s11
	s_delay_alu instid0(SALU_CYCLE_1)
	s_and_not1_b32 exec_lo, exec_lo, s11
	s_cbranch_execz .LBB14_362
.LBB14_280:                             ; =>This Loop Header: Depth=1
                                        ;     Child Loop BB14_283 Depth 2
                                        ;     Child Loop BB14_291 Depth 2
	;; [unrolled: 1-line block ×11, first 2 shown]
	s_delay_alu instid0(VALU_DEP_1)
	v_cmp_gt_u64_e32 vcc_lo, 56, v[30:31]
	s_mov_b32 s1, exec_lo
                                        ; implicit-def: $vgpr2_vgpr3
                                        ; implicit-def: $sgpr4
	v_dual_cndmask_b32 v33, 0, v31 :: v_dual_cndmask_b32 v32, 56, v30
	v_cmpx_gt_u64_e32 8, v[30:31]
	s_xor_b32 s1, exec_lo, s1
	s_cbranch_execz .LBB14_286
; %bb.281:                              ;   in Loop: Header=BB14_280 Depth=1
	s_waitcnt vmcnt(0)
	v_mov_b32_e32 v2, 0
	v_mov_b32_e32 v3, 0
	s_mov_b64 s[4:5], 0
	s_mov_b32 s6, exec_lo
	v_cmpx_ne_u64_e32 0, v[30:31]
	s_cbranch_execz .LBB14_285
; %bb.282:                              ;   in Loop: Header=BB14_280 Depth=1
	v_lshlrev_b64 v[4:5], 3, v[32:33]
	v_dual_mov_b32 v2, 0 :: v_dual_mov_b32 v15, v7
	v_dual_mov_b32 v3, 0 :: v_dual_mov_b32 v14, v6
	s_mov_b32 s7, 0
	.p2align	6
.LBB14_283:                             ;   Parent Loop BB14_280 Depth=1
                                        ; =>  This Inner Loop Header: Depth=2
	flat_load_u8 v5, v[14:15]
	v_mov_b32_e32 v17, s12
	v_add_co_u32 v14, vcc_lo, v14, 1
	v_add_co_ci_u32_e32 v15, vcc_lo, 0, v15, vcc_lo
	s_waitcnt vmcnt(0) lgkmcnt(0)
	v_and_b32_e32 v16, 0xffff, v5
	s_delay_alu instid0(VALU_DEP_1) | instskip(SKIP_3) | instid1(VALU_DEP_2)
	v_lshlrev_b64 v[16:17], s4, v[16:17]
	s_add_u32 s4, s4, 8
	s_addc_u32 s5, s5, 0
	v_cmp_eq_u32_e64 s0, s4, v4
	v_or_b32_e32 v3, v17, v3
	s_delay_alu instid0(VALU_DEP_3) | instskip(NEXT) | instid1(VALU_DEP_3)
	v_or_b32_e32 v2, v16, v2
	s_or_b32 s7, s0, s7
	s_delay_alu instid0(SALU_CYCLE_1)
	s_and_not1_b32 exec_lo, exec_lo, s7
	s_cbranch_execnz .LBB14_283
; %bb.284:                              ;   in Loop: Header=BB14_280 Depth=1
	s_or_b32 exec_lo, exec_lo, s7
.LBB14_285:                             ;   in Loop: Header=BB14_280 Depth=1
	s_delay_alu instid0(SALU_CYCLE_1)
	s_or_b32 exec_lo, exec_lo, s6
	s_mov_b32 s4, 0
.LBB14_286:                             ;   in Loop: Header=BB14_280 Depth=1
	s_or_saveexec_b32 s0, s1
	v_mov_b32_e32 v4, v6
	v_dual_mov_b32 v10, s4 :: v_dual_mov_b32 v5, v7
	s_xor_b32 exec_lo, exec_lo, s0
	s_cbranch_execz .LBB14_288
; %bb.287:                              ;   in Loop: Header=BB14_280 Depth=1
	s_waitcnt vmcnt(0)
	flat_load_b64 v[2:3], v[6:7]
	v_add_nc_u32_e32 v10, -8, v32
	s_waitcnt vmcnt(0) lgkmcnt(0)
	v_and_b32_e32 v4, 0xff, v3
	v_and_b32_e32 v5, 0xff00, v3
	;; [unrolled: 1-line block ×4, first 2 shown]
	v_or3_b32 v2, v2, 0, 0
	s_delay_alu instid0(VALU_DEP_4) | instskip(NEXT) | instid1(VALU_DEP_1)
	v_or_b32_e32 v4, v4, v5
	v_or3_b32 v3, v4, v14, v3
	v_add_co_u32 v4, vcc_lo, v6, 8
	v_add_co_ci_u32_e32 v5, vcc_lo, 0, v7, vcc_lo
.LBB14_288:                             ;   in Loop: Header=BB14_280 Depth=1
	s_or_b32 exec_lo, exec_lo, s0
                                        ; implicit-def: $vgpr14_vgpr15
                                        ; implicit-def: $sgpr1
	s_delay_alu instid0(SALU_CYCLE_1)
	s_mov_b32 s0, exec_lo
	v_cmpx_gt_u32_e32 8, v10
	s_xor_b32 s6, exec_lo, s0
	s_cbranch_execz .LBB14_294
; %bb.289:                              ;   in Loop: Header=BB14_280 Depth=1
	v_mov_b32_e32 v14, 0
	v_mov_b32_e32 v15, 0
	s_mov_b32 s7, exec_lo
	v_cmpx_ne_u32_e32 0, v10
	s_cbranch_execz .LBB14_293
; %bb.290:                              ;   in Loop: Header=BB14_280 Depth=1
	v_mov_b32_e32 v14, 0
	v_mov_b32_e32 v15, 0
	s_mov_b64 s[0:1], 0
	s_mov_b32 s13, 0
	s_mov_b64 s[4:5], 0
	.p2align	6
.LBB14_291:                             ;   Parent Loop BB14_280 Depth=1
                                        ; =>  This Inner Loop Header: Depth=2
	s_delay_alu instid0(SALU_CYCLE_1)
	v_add_co_u32 v16, vcc_lo, v4, s4
	v_add_co_ci_u32_e32 v17, vcc_lo, s5, v5, vcc_lo
	s_add_u32 s4, s4, 1
	s_addc_u32 s5, s5, 0
	v_cmp_eq_u32_e32 vcc_lo, s4, v10
	flat_load_u8 v16, v[16:17]
	s_waitcnt vmcnt(0) lgkmcnt(0)
	v_dual_mov_b32 v17, s12 :: v_dual_and_b32 v16, 0xffff, v16
	s_delay_alu instid0(VALU_DEP_1) | instskip(SKIP_3) | instid1(VALU_DEP_1)
	v_lshlrev_b64 v[16:17], s0, v[16:17]
	s_add_u32 s0, s0, 8
	s_addc_u32 s1, s1, 0
	s_or_b32 s13, vcc_lo, s13
	v_or_b32_e32 v15, v17, v15
	s_delay_alu instid0(VALU_DEP_2)
	v_or_b32_e32 v14, v16, v14
	s_and_not1_b32 exec_lo, exec_lo, s13
	s_cbranch_execnz .LBB14_291
; %bb.292:                              ;   in Loop: Header=BB14_280 Depth=1
	s_or_b32 exec_lo, exec_lo, s13
.LBB14_293:                             ;   in Loop: Header=BB14_280 Depth=1
	s_delay_alu instid0(SALU_CYCLE_1)
	s_or_b32 exec_lo, exec_lo, s7
	s_mov_b32 s1, 0
                                        ; implicit-def: $vgpr10
.LBB14_294:                             ;   in Loop: Header=BB14_280 Depth=1
	s_or_saveexec_b32 s0, s6
	v_mov_b32_e32 v18, s1
	s_xor_b32 exec_lo, exec_lo, s0
	s_cbranch_execz .LBB14_296
; %bb.295:                              ;   in Loop: Header=BB14_280 Depth=1
	flat_load_b64 v[14:15], v[4:5]
	v_add_co_u32 v4, vcc_lo, v4, 8
	v_add_nc_u32_e32 v18, -8, v10
	v_add_co_ci_u32_e32 v5, vcc_lo, 0, v5, vcc_lo
	s_waitcnt vmcnt(0) lgkmcnt(0)
	v_and_b32_e32 v16, 0xff, v15
	v_and_b32_e32 v17, 0xff00, v15
	v_and_b32_e32 v19, 0xff0000, v15
	v_and_b32_e32 v15, 0xff000000, v15
	v_or3_b32 v14, v14, 0, 0
	s_delay_alu instid0(VALU_DEP_4) | instskip(NEXT) | instid1(VALU_DEP_1)
	v_or_b32_e32 v16, v16, v17
	v_or3_b32 v15, v16, v19, v15
.LBB14_296:                             ;   in Loop: Header=BB14_280 Depth=1
	s_or_b32 exec_lo, exec_lo, s0
                                        ; implicit-def: $sgpr1
	s_delay_alu instid0(SALU_CYCLE_1)
	s_mov_b32 s0, exec_lo
	v_cmpx_gt_u32_e32 8, v18
	s_xor_b32 s6, exec_lo, s0
	s_cbranch_execz .LBB14_302
; %bb.297:                              ;   in Loop: Header=BB14_280 Depth=1
	v_mov_b32_e32 v16, 0
	v_mov_b32_e32 v17, 0
	s_mov_b32 s7, exec_lo
	v_cmpx_ne_u32_e32 0, v18
	s_cbranch_execz .LBB14_301
; %bb.298:                              ;   in Loop: Header=BB14_280 Depth=1
	v_mov_b32_e32 v16, 0
	v_mov_b32_e32 v17, 0
	s_mov_b64 s[0:1], 0
	s_mov_b32 s13, 0
	s_mov_b64 s[4:5], 0
	.p2align	6
.LBB14_299:                             ;   Parent Loop BB14_280 Depth=1
                                        ; =>  This Inner Loop Header: Depth=2
	s_delay_alu instid0(SALU_CYCLE_1)
	v_add_co_u32 v19, vcc_lo, v4, s4
	v_add_co_ci_u32_e32 v20, vcc_lo, s5, v5, vcc_lo
	s_add_u32 s4, s4, 1
	s_addc_u32 s5, s5, 0
	v_cmp_eq_u32_e32 vcc_lo, s4, v18
	flat_load_u8 v10, v[19:20]
	s_waitcnt vmcnt(0) lgkmcnt(0)
	v_dual_mov_b32 v20, s12 :: v_dual_and_b32 v19, 0xffff, v10
	s_delay_alu instid0(VALU_DEP_1) | instskip(SKIP_3) | instid1(VALU_DEP_1)
	v_lshlrev_b64 v[19:20], s0, v[19:20]
	s_add_u32 s0, s0, 8
	s_addc_u32 s1, s1, 0
	s_or_b32 s13, vcc_lo, s13
	v_or_b32_e32 v17, v20, v17
	s_delay_alu instid0(VALU_DEP_2)
	v_or_b32_e32 v16, v19, v16
	s_and_not1_b32 exec_lo, exec_lo, s13
	s_cbranch_execnz .LBB14_299
; %bb.300:                              ;   in Loop: Header=BB14_280 Depth=1
	s_or_b32 exec_lo, exec_lo, s13
.LBB14_301:                             ;   in Loop: Header=BB14_280 Depth=1
	s_delay_alu instid0(SALU_CYCLE_1)
	s_or_b32 exec_lo, exec_lo, s7
	s_mov_b32 s1, 0
                                        ; implicit-def: $vgpr18
.LBB14_302:                             ;   in Loop: Header=BB14_280 Depth=1
	s_or_saveexec_b32 s0, s6
	v_mov_b32_e32 v10, s1
	s_xor_b32 exec_lo, exec_lo, s0
	s_cbranch_execz .LBB14_304
; %bb.303:                              ;   in Loop: Header=BB14_280 Depth=1
	flat_load_b64 v[16:17], v[4:5]
	v_add_co_u32 v4, vcc_lo, v4, 8
	v_add_co_ci_u32_e32 v5, vcc_lo, 0, v5, vcc_lo
	s_waitcnt vmcnt(0) lgkmcnt(0)
	v_and_b32_e32 v10, 0xff, v17
	v_and_b32_e32 v19, 0xff00, v17
	;; [unrolled: 1-line block ×4, first 2 shown]
	v_or3_b32 v16, v16, 0, 0
	s_delay_alu instid0(VALU_DEP_4) | instskip(SKIP_1) | instid1(VALU_DEP_2)
	v_or_b32_e32 v19, v10, v19
	v_add_nc_u32_e32 v10, -8, v18
	v_or3_b32 v17, v19, v20, v17
.LBB14_304:                             ;   in Loop: Header=BB14_280 Depth=1
	s_or_b32 exec_lo, exec_lo, s0
                                        ; implicit-def: $vgpr18_vgpr19
                                        ; implicit-def: $sgpr1
	s_delay_alu instid0(SALU_CYCLE_1) | instskip(NEXT) | instid1(VALU_DEP_1)
	s_mov_b32 s0, exec_lo
	v_cmpx_gt_u32_e32 8, v10
	s_xor_b32 s6, exec_lo, s0
	s_cbranch_execz .LBB14_310
; %bb.305:                              ;   in Loop: Header=BB14_280 Depth=1
	v_mov_b32_e32 v18, 0
	v_mov_b32_e32 v19, 0
	s_mov_b32 s7, exec_lo
	v_cmpx_ne_u32_e32 0, v10
	s_cbranch_execz .LBB14_309
; %bb.306:                              ;   in Loop: Header=BB14_280 Depth=1
	v_mov_b32_e32 v18, 0
	v_mov_b32_e32 v19, 0
	s_mov_b64 s[0:1], 0
	s_mov_b32 s13, 0
	s_mov_b64 s[4:5], 0
	.p2align	6
.LBB14_307:                             ;   Parent Loop BB14_280 Depth=1
                                        ; =>  This Inner Loop Header: Depth=2
	s_delay_alu instid0(SALU_CYCLE_1)
	v_add_co_u32 v20, vcc_lo, v4, s4
	v_add_co_ci_u32_e32 v21, vcc_lo, s5, v5, vcc_lo
	s_add_u32 s4, s4, 1
	s_addc_u32 s5, s5, 0
	v_cmp_eq_u32_e32 vcc_lo, s4, v10
	flat_load_u8 v20, v[20:21]
	s_waitcnt vmcnt(0) lgkmcnt(0)
	v_dual_mov_b32 v21, s12 :: v_dual_and_b32 v20, 0xffff, v20
	s_delay_alu instid0(VALU_DEP_1) | instskip(SKIP_3) | instid1(VALU_DEP_1)
	v_lshlrev_b64 v[20:21], s0, v[20:21]
	s_add_u32 s0, s0, 8
	s_addc_u32 s1, s1, 0
	s_or_b32 s13, vcc_lo, s13
	v_or_b32_e32 v19, v21, v19
	s_delay_alu instid0(VALU_DEP_2)
	v_or_b32_e32 v18, v20, v18
	s_and_not1_b32 exec_lo, exec_lo, s13
	s_cbranch_execnz .LBB14_307
; %bb.308:                              ;   in Loop: Header=BB14_280 Depth=1
	s_or_b32 exec_lo, exec_lo, s13
.LBB14_309:                             ;   in Loop: Header=BB14_280 Depth=1
	s_delay_alu instid0(SALU_CYCLE_1)
	s_or_b32 exec_lo, exec_lo, s7
	s_mov_b32 s1, 0
                                        ; implicit-def: $vgpr10
.LBB14_310:                             ;   in Loop: Header=BB14_280 Depth=1
	s_or_saveexec_b32 s0, s6
	v_mov_b32_e32 v22, s1
	s_xor_b32 exec_lo, exec_lo, s0
	s_cbranch_execz .LBB14_312
; %bb.311:                              ;   in Loop: Header=BB14_280 Depth=1
	flat_load_b64 v[18:19], v[4:5]
	v_add_co_u32 v4, vcc_lo, v4, 8
	v_add_nc_u32_e32 v22, -8, v10
	v_add_co_ci_u32_e32 v5, vcc_lo, 0, v5, vcc_lo
	s_waitcnt vmcnt(0) lgkmcnt(0)
	v_and_b32_e32 v20, 0xff, v19
	v_and_b32_e32 v21, 0xff00, v19
	v_and_b32_e32 v23, 0xff0000, v19
	v_and_b32_e32 v19, 0xff000000, v19
	v_or3_b32 v18, v18, 0, 0
	s_delay_alu instid0(VALU_DEP_4) | instskip(NEXT) | instid1(VALU_DEP_1)
	v_or_b32_e32 v20, v20, v21
	v_or3_b32 v19, v20, v23, v19
.LBB14_312:                             ;   in Loop: Header=BB14_280 Depth=1
	s_or_b32 exec_lo, exec_lo, s0
                                        ; implicit-def: $sgpr1
	s_delay_alu instid0(SALU_CYCLE_1)
	s_mov_b32 s0, exec_lo
	v_cmpx_gt_u32_e32 8, v22
	s_xor_b32 s6, exec_lo, s0
	s_cbranch_execz .LBB14_318
; %bb.313:                              ;   in Loop: Header=BB14_280 Depth=1
	v_mov_b32_e32 v20, 0
	v_mov_b32_e32 v21, 0
	s_mov_b32 s7, exec_lo
	v_cmpx_ne_u32_e32 0, v22
	s_cbranch_execz .LBB14_317
; %bb.314:                              ;   in Loop: Header=BB14_280 Depth=1
	v_mov_b32_e32 v20, 0
	v_mov_b32_e32 v21, 0
	s_mov_b64 s[0:1], 0
	s_mov_b32 s13, 0
	s_mov_b64 s[4:5], 0
	.p2align	6
.LBB14_315:                             ;   Parent Loop BB14_280 Depth=1
                                        ; =>  This Inner Loop Header: Depth=2
	s_delay_alu instid0(SALU_CYCLE_1)
	v_add_co_u32 v23, vcc_lo, v4, s4
	v_add_co_ci_u32_e32 v24, vcc_lo, s5, v5, vcc_lo
	s_add_u32 s4, s4, 1
	s_addc_u32 s5, s5, 0
	v_cmp_eq_u32_e32 vcc_lo, s4, v22
	flat_load_u8 v10, v[23:24]
	s_waitcnt vmcnt(0) lgkmcnt(0)
	v_dual_mov_b32 v24, s12 :: v_dual_and_b32 v23, 0xffff, v10
	s_delay_alu instid0(VALU_DEP_1) | instskip(SKIP_3) | instid1(VALU_DEP_1)
	v_lshlrev_b64 v[23:24], s0, v[23:24]
	s_add_u32 s0, s0, 8
	s_addc_u32 s1, s1, 0
	s_or_b32 s13, vcc_lo, s13
	v_or_b32_e32 v21, v24, v21
	s_delay_alu instid0(VALU_DEP_2)
	v_or_b32_e32 v20, v23, v20
	s_and_not1_b32 exec_lo, exec_lo, s13
	s_cbranch_execnz .LBB14_315
; %bb.316:                              ;   in Loop: Header=BB14_280 Depth=1
	s_or_b32 exec_lo, exec_lo, s13
.LBB14_317:                             ;   in Loop: Header=BB14_280 Depth=1
	s_delay_alu instid0(SALU_CYCLE_1)
	s_or_b32 exec_lo, exec_lo, s7
	s_mov_b32 s1, 0
                                        ; implicit-def: $vgpr22
.LBB14_318:                             ;   in Loop: Header=BB14_280 Depth=1
	s_or_saveexec_b32 s0, s6
	v_mov_b32_e32 v10, s1
	s_xor_b32 exec_lo, exec_lo, s0
	s_cbranch_execz .LBB14_320
; %bb.319:                              ;   in Loop: Header=BB14_280 Depth=1
	flat_load_b64 v[20:21], v[4:5]
	v_add_co_u32 v4, vcc_lo, v4, 8
	v_add_co_ci_u32_e32 v5, vcc_lo, 0, v5, vcc_lo
	s_waitcnt vmcnt(0) lgkmcnt(0)
	v_and_b32_e32 v10, 0xff, v21
	v_and_b32_e32 v23, 0xff00, v21
	;; [unrolled: 1-line block ×4, first 2 shown]
	v_or3_b32 v20, v20, 0, 0
	s_delay_alu instid0(VALU_DEP_4) | instskip(SKIP_1) | instid1(VALU_DEP_2)
	v_or_b32_e32 v23, v10, v23
	v_add_nc_u32_e32 v10, -8, v22
	v_or3_b32 v21, v23, v24, v21
.LBB14_320:                             ;   in Loop: Header=BB14_280 Depth=1
	s_or_b32 exec_lo, exec_lo, s0
                                        ; implicit-def: $vgpr22_vgpr23
                                        ; implicit-def: $sgpr1
	s_delay_alu instid0(SALU_CYCLE_1) | instskip(NEXT) | instid1(VALU_DEP_1)
	s_mov_b32 s0, exec_lo
	v_cmpx_gt_u32_e32 8, v10
	s_xor_b32 s6, exec_lo, s0
	s_cbranch_execz .LBB14_326
; %bb.321:                              ;   in Loop: Header=BB14_280 Depth=1
	v_mov_b32_e32 v22, 0
	v_mov_b32_e32 v23, 0
	s_mov_b32 s7, exec_lo
	v_cmpx_ne_u32_e32 0, v10
	s_cbranch_execz .LBB14_325
; %bb.322:                              ;   in Loop: Header=BB14_280 Depth=1
	v_mov_b32_e32 v22, 0
	v_mov_b32_e32 v23, 0
	s_mov_b64 s[0:1], 0
	s_mov_b32 s13, 0
	s_mov_b64 s[4:5], 0
	.p2align	6
.LBB14_323:                             ;   Parent Loop BB14_280 Depth=1
                                        ; =>  This Inner Loop Header: Depth=2
	s_delay_alu instid0(SALU_CYCLE_1)
	v_add_co_u32 v24, vcc_lo, v4, s4
	v_add_co_ci_u32_e32 v25, vcc_lo, s5, v5, vcc_lo
	s_add_u32 s4, s4, 1
	s_addc_u32 s5, s5, 0
	v_cmp_eq_u32_e32 vcc_lo, s4, v10
	flat_load_u8 v24, v[24:25]
	s_waitcnt vmcnt(0) lgkmcnt(0)
	v_dual_mov_b32 v25, s12 :: v_dual_and_b32 v24, 0xffff, v24
	s_delay_alu instid0(VALU_DEP_1) | instskip(SKIP_3) | instid1(VALU_DEP_1)
	v_lshlrev_b64 v[24:25], s0, v[24:25]
	s_add_u32 s0, s0, 8
	s_addc_u32 s1, s1, 0
	s_or_b32 s13, vcc_lo, s13
	v_or_b32_e32 v23, v25, v23
	s_delay_alu instid0(VALU_DEP_2)
	v_or_b32_e32 v22, v24, v22
	s_and_not1_b32 exec_lo, exec_lo, s13
	s_cbranch_execnz .LBB14_323
; %bb.324:                              ;   in Loop: Header=BB14_280 Depth=1
	s_or_b32 exec_lo, exec_lo, s13
.LBB14_325:                             ;   in Loop: Header=BB14_280 Depth=1
	s_delay_alu instid0(SALU_CYCLE_1)
	s_or_b32 exec_lo, exec_lo, s7
	s_mov_b32 s1, 0
                                        ; implicit-def: $vgpr10
.LBB14_326:                             ;   in Loop: Header=BB14_280 Depth=1
	s_or_saveexec_b32 s0, s6
	v_mov_b32_e32 v26, s1
	s_xor_b32 exec_lo, exec_lo, s0
	s_cbranch_execz .LBB14_328
; %bb.327:                              ;   in Loop: Header=BB14_280 Depth=1
	flat_load_b64 v[22:23], v[4:5]
	v_add_co_u32 v4, vcc_lo, v4, 8
	v_add_nc_u32_e32 v26, -8, v10
	v_add_co_ci_u32_e32 v5, vcc_lo, 0, v5, vcc_lo
	s_waitcnt vmcnt(0) lgkmcnt(0)
	v_and_b32_e32 v24, 0xff, v23
	v_and_b32_e32 v25, 0xff00, v23
	;; [unrolled: 1-line block ×4, first 2 shown]
	v_or3_b32 v22, v22, 0, 0
	s_delay_alu instid0(VALU_DEP_4) | instskip(NEXT) | instid1(VALU_DEP_1)
	v_or_b32_e32 v24, v24, v25
	v_or3_b32 v23, v24, v27, v23
.LBB14_328:                             ;   in Loop: Header=BB14_280 Depth=1
	s_or_b32 exec_lo, exec_lo, s0
	s_delay_alu instid0(SALU_CYCLE_1)
	s_mov_b32 s0, exec_lo
	v_cmpx_gt_u32_e32 8, v26
	s_xor_b32 s4, exec_lo, s0
	s_cbranch_execz .LBB14_334
; %bb.329:                              ;   in Loop: Header=BB14_280 Depth=1
	v_mov_b32_e32 v24, 0
	v_mov_b32_e32 v25, 0
	s_mov_b32 s5, exec_lo
	v_cmpx_ne_u32_e32 0, v26
	s_cbranch_execz .LBB14_333
; %bb.330:                              ;   in Loop: Header=BB14_280 Depth=1
	v_mov_b32_e32 v24, 0
	v_mov_b32_e32 v25, 0
	s_mov_b64 s[0:1], 0
	s_mov_b32 s6, 0
	.p2align	6
.LBB14_331:                             ;   Parent Loop BB14_280 Depth=1
                                        ; =>  This Inner Loop Header: Depth=2
	flat_load_u8 v10, v[4:5]
	v_mov_b32_e32 v28, s12
	v_add_nc_u32_e32 v26, -1, v26
	v_add_co_u32 v4, vcc_lo, v4, 1
	v_add_co_ci_u32_e32 v5, vcc_lo, 0, v5, vcc_lo
	s_delay_alu instid0(VALU_DEP_3) | instskip(SKIP_2) | instid1(VALU_DEP_1)
	v_cmp_eq_u32_e32 vcc_lo, 0, v26
	s_waitcnt vmcnt(0) lgkmcnt(0)
	v_and_b32_e32 v27, 0xffff, v10
	v_lshlrev_b64 v[27:28], s0, v[27:28]
	s_add_u32 s0, s0, 8
	s_addc_u32 s1, s1, 0
	s_or_b32 s6, vcc_lo, s6
	s_delay_alu instid0(VALU_DEP_1) | instskip(NEXT) | instid1(VALU_DEP_2)
	v_or_b32_e32 v25, v28, v25
	v_or_b32_e32 v24, v27, v24
	s_and_not1_b32 exec_lo, exec_lo, s6
	s_cbranch_execnz .LBB14_331
; %bb.332:                              ;   in Loop: Header=BB14_280 Depth=1
	s_or_b32 exec_lo, exec_lo, s6
.LBB14_333:                             ;   in Loop: Header=BB14_280 Depth=1
	s_delay_alu instid0(SALU_CYCLE_1)
	s_or_b32 exec_lo, exec_lo, s5
                                        ; implicit-def: $vgpr4_vgpr5
.LBB14_334:                             ;   in Loop: Header=BB14_280 Depth=1
	s_and_not1_saveexec_b32 s0, s4
	s_cbranch_execz .LBB14_336
; %bb.335:                              ;   in Loop: Header=BB14_280 Depth=1
	flat_load_b64 v[4:5], v[4:5]
	s_waitcnt vmcnt(0) lgkmcnt(0)
	v_and_b32_e32 v10, 0xff, v5
	v_and_b32_e32 v24, 0xff00, v5
	;; [unrolled: 1-line block ×4, first 2 shown]
	s_delay_alu instid0(VALU_DEP_3) | instskip(SKIP_1) | instid1(VALU_DEP_2)
	v_or_b32_e32 v10, v10, v24
	v_or3_b32 v24, v4, 0, 0
	v_or3_b32 v25, v10, v25, v5
.LBB14_336:                             ;   in Loop: Header=BB14_280 Depth=1
	s_or_b32 exec_lo, exec_lo, s0
	v_readfirstlane_b32 s0, v48
	v_mov_b32_e32 v4, 0
	v_mov_b32_e32 v5, 0
	s_delay_alu instid0(VALU_DEP_3) | instskip(NEXT) | instid1(VALU_DEP_1)
	v_cmp_eq_u32_e64 s0, s0, v48
	s_and_saveexec_b32 s1, s0
	s_cbranch_execz .LBB14_342
; %bb.337:                              ;   in Loop: Header=BB14_280 Depth=1
	global_load_b64 v[28:29], v11, s[2:3] offset:24 glc
	s_waitcnt vmcnt(0)
	buffer_gl1_inv
	buffer_gl0_inv
	s_clause 0x1
	global_load_b64 v[4:5], v11, s[2:3] offset:40
	global_load_b64 v[26:27], v11, s[2:3]
	s_mov_b32 s4, exec_lo
	s_waitcnt vmcnt(1)
	v_and_b32_e32 v5, v5, v29
	v_and_b32_e32 v4, v4, v28
	s_delay_alu instid0(VALU_DEP_2) | instskip(NEXT) | instid1(VALU_DEP_2)
	v_mul_lo_u32 v5, v5, 24
	v_mul_hi_u32 v10, v4, 24
	v_mul_lo_u32 v4, v4, 24
	s_delay_alu instid0(VALU_DEP_2) | instskip(SKIP_1) | instid1(VALU_DEP_2)
	v_add_nc_u32_e32 v5, v10, v5
	s_waitcnt vmcnt(0)
	v_add_co_u32 v4, vcc_lo, v26, v4
	s_delay_alu instid0(VALU_DEP_2)
	v_add_co_ci_u32_e32 v5, vcc_lo, v27, v5, vcc_lo
	global_load_b64 v[26:27], v[4:5], off glc
	s_waitcnt vmcnt(0)
	global_atomic_cmpswap_b64 v[4:5], v11, v[26:29], s[2:3] offset:24 glc
	s_waitcnt vmcnt(0)
	buffer_gl1_inv
	buffer_gl0_inv
	v_cmpx_ne_u64_e64 v[4:5], v[28:29]
	s_cbranch_execz .LBB14_341
; %bb.338:                              ;   in Loop: Header=BB14_280 Depth=1
	s_mov_b32 s5, 0
	.p2align	6
.LBB14_339:                             ;   Parent Loop BB14_280 Depth=1
                                        ; =>  This Inner Loop Header: Depth=2
	s_sleep 1
	s_clause 0x1
	global_load_b64 v[26:27], v11, s[2:3] offset:40
	global_load_b64 v[35:36], v11, s[2:3]
	v_dual_mov_b32 v29, v5 :: v_dual_mov_b32 v28, v4
	s_waitcnt vmcnt(1)
	s_delay_alu instid0(VALU_DEP_1) | instskip(SKIP_1) | instid1(VALU_DEP_1)
	v_and_b32_e32 v10, v26, v28
	s_waitcnt vmcnt(0)
	v_mad_u64_u32 v[4:5], null, v10, 24, v[35:36]
	v_and_b32_e32 v10, v27, v29
	s_delay_alu instid0(VALU_DEP_1) | instskip(NEXT) | instid1(VALU_DEP_1)
	v_mad_u64_u32 v[26:27], null, v10, 24, v[5:6]
	v_mov_b32_e32 v5, v26
	global_load_b64 v[26:27], v[4:5], off glc
	s_waitcnt vmcnt(0)
	global_atomic_cmpswap_b64 v[4:5], v11, v[26:29], s[2:3] offset:24 glc
	s_waitcnt vmcnt(0)
	buffer_gl1_inv
	buffer_gl0_inv
	v_cmp_eq_u64_e32 vcc_lo, v[4:5], v[28:29]
	s_or_b32 s5, vcc_lo, s5
	s_delay_alu instid0(SALU_CYCLE_1)
	s_and_not1_b32 exec_lo, exec_lo, s5
	s_cbranch_execnz .LBB14_339
; %bb.340:                              ;   in Loop: Header=BB14_280 Depth=1
	s_or_b32 exec_lo, exec_lo, s5
.LBB14_341:                             ;   in Loop: Header=BB14_280 Depth=1
	s_delay_alu instid0(SALU_CYCLE_1)
	s_or_b32 exec_lo, exec_lo, s4
.LBB14_342:                             ;   in Loop: Header=BB14_280 Depth=1
	s_delay_alu instid0(SALU_CYCLE_1)
	s_or_b32 exec_lo, exec_lo, s1
	s_clause 0x1
	global_load_b64 v[35:36], v11, s[2:3] offset:40
	global_load_b128 v[26:29], v11, s[2:3]
	v_readfirstlane_b32 s4, v4
	v_readfirstlane_b32 s5, v5
	s_mov_b32 s1, exec_lo
	s_waitcnt vmcnt(1)
	v_readfirstlane_b32 s6, v35
	v_readfirstlane_b32 s7, v36
	s_delay_alu instid0(VALU_DEP_1) | instskip(NEXT) | instid1(SALU_CYCLE_1)
	s_and_b64 s[6:7], s[4:5], s[6:7]
	s_mul_i32 s13, s7, 24
	s_mul_hi_u32 s14, s6, 24
	s_mul_i32 s15, s6, 24
	s_add_i32 s14, s14, s13
	s_waitcnt vmcnt(0)
	v_add_co_u32 v4, vcc_lo, v26, s15
	v_add_co_ci_u32_e32 v5, vcc_lo, s14, v27, vcc_lo
	s_and_saveexec_b32 s13, s0
	s_cbranch_execz .LBB14_344
; %bb.343:                              ;   in Loop: Header=BB14_280 Depth=1
	v_mov_b32_e32 v10, s1
	global_store_b128 v[4:5], v[10:13], off offset:8
.LBB14_344:                             ;   in Loop: Header=BB14_280 Depth=1
	s_or_b32 exec_lo, exec_lo, s13
	v_cmp_lt_u64_e32 vcc_lo, 56, v[30:31]
	v_or_b32_e32 v10, 0, v1
	v_or_b32_e32 v35, v0, v34
	v_lshl_add_u32 v36, v32, 2, 28
	s_lshl_b64 s[6:7], s[6:7], 12
	s_delay_alu instid0(SALU_CYCLE_1) | instskip(NEXT) | instid1(VALU_DEP_1)
	v_add_co_u32 v28, s1, v28, s6
	v_add_co_ci_u32_e64 v29, s1, s7, v29, s1
	v_dual_cndmask_b32 v1, v10, v1 :: v_dual_cndmask_b32 v0, v35, v0
	v_and_b32_e32 v10, 0x1e0, v36
	s_delay_alu instid0(VALU_DEP_4) | instskip(NEXT) | instid1(VALU_DEP_4)
	v_readfirstlane_b32 s6, v28
	v_readfirstlane_b32 s7, v29
	s_delay_alu instid0(VALU_DEP_3)
	v_and_or_b32 v0, 0xffffff1f, v0, v10
	s_clause 0x3
	global_store_b128 v39, v[0:3], s[6:7]
	global_store_b128 v39, v[14:17], s[6:7] offset:16
	global_store_b128 v39, v[18:21], s[6:7] offset:32
	;; [unrolled: 1-line block ×3, first 2 shown]
	s_and_saveexec_b32 s1, s0
	s_cbranch_execz .LBB14_352
; %bb.345:                              ;   in Loop: Header=BB14_280 Depth=1
	s_clause 0x1
	global_load_b64 v[18:19], v11, s[2:3] offset:32 glc
	global_load_b64 v[0:1], v11, s[2:3] offset:40
	v_dual_mov_b32 v16, s4 :: v_dual_mov_b32 v17, s5
	s_waitcnt vmcnt(0)
	v_readfirstlane_b32 s6, v0
	v_readfirstlane_b32 s7, v1
	s_delay_alu instid0(VALU_DEP_1) | instskip(NEXT) | instid1(SALU_CYCLE_1)
	s_and_b64 s[6:7], s[6:7], s[4:5]
	s_mul_i32 s7, s7, 24
	s_mul_hi_u32 s13, s6, 24
	s_mul_i32 s6, s6, 24
	s_add_i32 s13, s13, s7
	v_add_co_u32 v14, vcc_lo, v26, s6
	v_add_co_ci_u32_e32 v15, vcc_lo, s13, v27, vcc_lo
	s_mov_b32 s6, exec_lo
	global_store_b64 v[14:15], v[18:19], off
	s_waitcnt_vscnt null, 0x0
	global_atomic_cmpswap_b64 v[2:3], v11, v[16:19], s[2:3] offset:32 glc
	s_waitcnt vmcnt(0)
	v_cmpx_ne_u64_e64 v[2:3], v[18:19]
	s_cbranch_execz .LBB14_348
; %bb.346:                              ;   in Loop: Header=BB14_280 Depth=1
	s_mov_b32 s7, 0
.LBB14_347:                             ;   Parent Loop BB14_280 Depth=1
                                        ; =>  This Inner Loop Header: Depth=2
	v_dual_mov_b32 v0, s4 :: v_dual_mov_b32 v1, s5
	s_sleep 1
	global_store_b64 v[14:15], v[2:3], off
	s_waitcnt_vscnt null, 0x0
	global_atomic_cmpswap_b64 v[0:1], v11, v[0:3], s[2:3] offset:32 glc
	s_waitcnt vmcnt(0)
	v_cmp_eq_u64_e32 vcc_lo, v[0:1], v[2:3]
	v_dual_mov_b32 v3, v1 :: v_dual_mov_b32 v2, v0
	s_or_b32 s7, vcc_lo, s7
	s_delay_alu instid0(SALU_CYCLE_1)
	s_and_not1_b32 exec_lo, exec_lo, s7
	s_cbranch_execnz .LBB14_347
.LBB14_348:                             ;   in Loop: Header=BB14_280 Depth=1
	s_or_b32 exec_lo, exec_lo, s6
	global_load_b64 v[0:1], v11, s[2:3] offset:16
	s_mov_b32 s7, exec_lo
	s_mov_b32 s6, exec_lo
	v_mbcnt_lo_u32_b32 v2, s7, 0
	s_delay_alu instid0(VALU_DEP_1)
	v_cmpx_eq_u32_e32 0, v2
	s_cbranch_execz .LBB14_350
; %bb.349:                              ;   in Loop: Header=BB14_280 Depth=1
	s_bcnt1_i32_b32 s7, s7
	s_delay_alu instid0(SALU_CYCLE_1)
	v_mov_b32_e32 v10, s7
	s_waitcnt vmcnt(0)
	global_atomic_add_u64 v[0:1], v[10:11], off offset:8
.LBB14_350:                             ;   in Loop: Header=BB14_280 Depth=1
	s_or_b32 exec_lo, exec_lo, s6
	s_waitcnt vmcnt(0)
	global_load_b64 v[2:3], v[0:1], off offset:16
	s_waitcnt vmcnt(0)
	v_cmp_eq_u64_e32 vcc_lo, 0, v[2:3]
	s_cbranch_vccnz .LBB14_352
; %bb.351:                              ;   in Loop: Header=BB14_280 Depth=1
	global_load_b32 v10, v[0:1], off offset:24
	s_waitcnt vmcnt(0)
	v_and_b32_e32 v0, 0xffffff, v10
	s_waitcnt_vscnt null, 0x0
	global_store_b64 v[2:3], v[10:11], off
	v_readfirstlane_b32 m0, v0
	s_sendmsg sendmsg(MSG_INTERRUPT)
.LBB14_352:                             ;   in Loop: Header=BB14_280 Depth=1
	s_or_b32 exec_lo, exec_lo, s1
	v_add_co_u32 v0, vcc_lo, v28, v39
	v_add_co_ci_u32_e32 v1, vcc_lo, 0, v29, vcc_lo
	s_branch .LBB14_356
	.p2align	6
.LBB14_353:                             ;   in Loop: Header=BB14_356 Depth=2
	s_or_b32 exec_lo, exec_lo, s1
	s_delay_alu instid0(VALU_DEP_1) | instskip(NEXT) | instid1(VALU_DEP_1)
	v_readfirstlane_b32 s1, v2
	s_cmp_eq_u32 s1, 0
	s_cbranch_scc1 .LBB14_355
; %bb.354:                              ;   in Loop: Header=BB14_356 Depth=2
	s_sleep 1
	s_cbranch_execnz .LBB14_356
	s_branch .LBB14_358
	.p2align	6
.LBB14_355:                             ;   in Loop: Header=BB14_280 Depth=1
	s_branch .LBB14_358
.LBB14_356:                             ;   Parent Loop BB14_280 Depth=1
                                        ; =>  This Inner Loop Header: Depth=2
	v_mov_b32_e32 v2, 1
	s_and_saveexec_b32 s1, s0
	s_cbranch_execz .LBB14_353
; %bb.357:                              ;   in Loop: Header=BB14_356 Depth=2
	global_load_b32 v2, v[4:5], off offset:20 glc
	s_waitcnt vmcnt(0)
	buffer_gl1_inv
	buffer_gl0_inv
	v_and_b32_e32 v2, 1, v2
	s_branch .LBB14_353
.LBB14_358:                             ;   in Loop: Header=BB14_280 Depth=1
	global_load_b128 v[0:3], v[0:1], off
	s_and_saveexec_b32 s1, s0
	s_cbranch_execz .LBB14_279
; %bb.359:                              ;   in Loop: Header=BB14_280 Depth=1
	s_clause 0x2
	global_load_b64 v[4:5], v11, s[2:3] offset:40
	global_load_b64 v[16:17], v11, s[2:3] offset:24 glc
	global_load_b64 v[14:15], v11, s[2:3]
	s_waitcnt vmcnt(2)
	v_add_co_u32 v10, vcc_lo, v4, 1
	v_add_co_ci_u32_e32 v18, vcc_lo, 0, v5, vcc_lo
	s_delay_alu instid0(VALU_DEP_2) | instskip(NEXT) | instid1(VALU_DEP_2)
	v_add_co_u32 v2, vcc_lo, v10, s4
	v_add_co_ci_u32_e32 v3, vcc_lo, s5, v18, vcc_lo
	s_delay_alu instid0(VALU_DEP_1) | instskip(SKIP_1) | instid1(VALU_DEP_1)
	v_cmp_eq_u64_e32 vcc_lo, 0, v[2:3]
	v_cndmask_b32_e32 v2, v2, v10, vcc_lo
	v_dual_cndmask_b32 v3, v3, v18 :: v_dual_and_b32 v4, v2, v4
	s_delay_alu instid0(VALU_DEP_1) | instskip(NEXT) | instid1(VALU_DEP_2)
	v_and_b32_e32 v5, v3, v5
	v_mul_hi_u32 v10, v4, 24
	s_delay_alu instid0(VALU_DEP_2) | instskip(SKIP_1) | instid1(VALU_DEP_2)
	v_mul_lo_u32 v5, v5, 24
	v_mul_lo_u32 v4, v4, 24
	v_add_nc_u32_e32 v5, v10, v5
	s_waitcnt vmcnt(0)
	s_delay_alu instid0(VALU_DEP_2) | instskip(SKIP_1) | instid1(VALU_DEP_3)
	v_add_co_u32 v14, vcc_lo, v14, v4
	v_mov_b32_e32 v4, v16
	v_add_co_ci_u32_e32 v15, vcc_lo, v15, v5, vcc_lo
	v_mov_b32_e32 v5, v17
	global_store_b64 v[14:15], v[16:17], off
	s_waitcnt_vscnt null, 0x0
	global_atomic_cmpswap_b64 v[4:5], v11, v[2:5], s[2:3] offset:24 glc
	s_waitcnt vmcnt(0)
	v_cmp_ne_u64_e32 vcc_lo, v[4:5], v[16:17]
	s_and_b32 exec_lo, exec_lo, vcc_lo
	s_cbranch_execz .LBB14_279
; %bb.360:                              ;   in Loop: Header=BB14_280 Depth=1
	s_mov_b32 s0, 0
.LBB14_361:                             ;   Parent Loop BB14_280 Depth=1
                                        ; =>  This Inner Loop Header: Depth=2
	s_sleep 1
	global_store_b64 v[14:15], v[4:5], off
	s_waitcnt_vscnt null, 0x0
	global_atomic_cmpswap_b64 v[16:17], v11, v[2:5], s[2:3] offset:24 glc
	s_waitcnt vmcnt(0)
	v_cmp_eq_u64_e32 vcc_lo, v[16:17], v[4:5]
	v_dual_mov_b32 v4, v16 :: v_dual_mov_b32 v5, v17
	s_or_b32 s0, vcc_lo, s0
	s_delay_alu instid0(SALU_CYCLE_1)
	s_and_not1_b32 exec_lo, exec_lo, s0
	s_cbranch_execnz .LBB14_361
	s_branch .LBB14_279
.LBB14_362:
	s_or_b32 exec_lo, exec_lo, s11
                                        ; implicit-def: $vgpr39
                                        ; implicit-def: $vgpr48
.LBB14_363:
	s_and_not1_saveexec_b32 s1, s10
	s_cbranch_execz .LBB14_391
; %bb.364:
	v_readfirstlane_b32 s0, v48
	v_mov_b32_e32 v10, 0
	v_mov_b32_e32 v11, 0
	s_delay_alu instid0(VALU_DEP_3) | instskip(NEXT) | instid1(VALU_DEP_1)
	v_cmp_eq_u32_e64 s0, s0, v48
	s_and_saveexec_b32 s4, s0
	s_cbranch_execz .LBB14_370
; %bb.365:
	s_waitcnt vmcnt(0)
	v_mov_b32_e32 v2, 0
	s_mov_b32 s5, exec_lo
	global_load_b64 v[5:6], v2, s[2:3] offset:24 glc
	s_waitcnt vmcnt(0)
	buffer_gl1_inv
	buffer_gl0_inv
	s_clause 0x1
	global_load_b64 v[3:4], v2, s[2:3] offset:40
	global_load_b64 v[10:11], v2, s[2:3]
	s_waitcnt vmcnt(1)
	v_and_b32_e32 v3, v3, v5
	v_and_b32_e32 v4, v4, v6
	s_delay_alu instid0(VALU_DEP_2) | instskip(NEXT) | instid1(VALU_DEP_2)
	v_mul_hi_u32 v7, v3, 24
	v_mul_lo_u32 v4, v4, 24
	v_mul_lo_u32 v3, v3, 24
	s_delay_alu instid0(VALU_DEP_2) | instskip(SKIP_1) | instid1(VALU_DEP_2)
	v_add_nc_u32_e32 v4, v7, v4
	s_waitcnt vmcnt(0)
	v_add_co_u32 v3, vcc_lo, v10, v3
	s_delay_alu instid0(VALU_DEP_2)
	v_add_co_ci_u32_e32 v4, vcc_lo, v11, v4, vcc_lo
	global_load_b64 v[3:4], v[3:4], off glc
	s_waitcnt vmcnt(0)
	global_atomic_cmpswap_b64 v[10:11], v2, v[3:6], s[2:3] offset:24 glc
	s_waitcnt vmcnt(0)
	buffer_gl1_inv
	buffer_gl0_inv
	v_cmpx_ne_u64_e64 v[10:11], v[5:6]
	s_cbranch_execz .LBB14_369
; %bb.366:
	s_mov_b32 s6, 0
	.p2align	6
.LBB14_367:                             ; =>This Inner Loop Header: Depth=1
	s_sleep 1
	s_clause 0x1
	global_load_b64 v[3:4], v2, s[2:3] offset:40
	global_load_b64 v[12:13], v2, s[2:3]
	v_dual_mov_b32 v5, v10 :: v_dual_mov_b32 v6, v11
	s_waitcnt vmcnt(1)
	s_delay_alu instid0(VALU_DEP_1) | instskip(SKIP_1) | instid1(VALU_DEP_1)
	v_and_b32_e32 v3, v3, v5
	s_waitcnt vmcnt(0)
	v_mad_u64_u32 v[10:11], null, v3, 24, v[12:13]
	s_delay_alu instid0(VALU_DEP_1) | instskip(NEXT) | instid1(VALU_DEP_1)
	v_dual_mov_b32 v3, v11 :: v_dual_and_b32 v4, v4, v6
	v_mad_u64_u32 v[11:12], null, v4, 24, v[3:4]
	global_load_b64 v[3:4], v[10:11], off glc
	s_waitcnt vmcnt(0)
	global_atomic_cmpswap_b64 v[10:11], v2, v[3:6], s[2:3] offset:24 glc
	s_waitcnt vmcnt(0)
	buffer_gl1_inv
	buffer_gl0_inv
	v_cmp_eq_u64_e32 vcc_lo, v[10:11], v[5:6]
	s_or_b32 s6, vcc_lo, s6
	s_delay_alu instid0(SALU_CYCLE_1)
	s_and_not1_b32 exec_lo, exec_lo, s6
	s_cbranch_execnz .LBB14_367
; %bb.368:
	s_or_b32 exec_lo, exec_lo, s6
.LBB14_369:
	s_delay_alu instid0(SALU_CYCLE_1)
	s_or_b32 exec_lo, exec_lo, s5
.LBB14_370:
	s_delay_alu instid0(SALU_CYCLE_1)
	s_or_b32 exec_lo, exec_lo, s4
	s_waitcnt vmcnt(0)
	v_mov_b32_e32 v2, 0
	v_readfirstlane_b32 s4, v10
	v_readfirstlane_b32 s5, v11
	s_mov_b32 s10, exec_lo
	s_clause 0x1
	global_load_b64 v[12:13], v2, s[2:3] offset:40
	global_load_b128 v[4:7], v2, s[2:3]
	s_waitcnt vmcnt(1)
	v_readfirstlane_b32 s6, v12
	v_readfirstlane_b32 s7, v13
	s_delay_alu instid0(VALU_DEP_1) | instskip(NEXT) | instid1(SALU_CYCLE_1)
	s_and_b64 s[6:7], s[4:5], s[6:7]
	s_mul_i32 s11, s7, 24
	s_mul_hi_u32 s12, s6, 24
	s_mul_i32 s13, s6, 24
	s_add_i32 s12, s12, s11
	s_waitcnt vmcnt(0)
	v_add_co_u32 v10, vcc_lo, v4, s13
	v_add_co_ci_u32_e32 v11, vcc_lo, s12, v5, vcc_lo
	s_and_saveexec_b32 s11, s0
	s_cbranch_execz .LBB14_372
; %bb.371:
	v_dual_mov_b32 v12, s10 :: v_dual_mov_b32 v13, v2
	v_dual_mov_b32 v14, 2 :: v_dual_mov_b32 v15, 1
	global_store_b128 v[10:11], v[12:15], off offset:8
.LBB14_372:
	s_or_b32 exec_lo, exec_lo, s11
	s_lshl_b64 s[6:7], s[6:7], 12
	s_mov_b32 s12, 0
	v_add_co_u32 v6, vcc_lo, v6, s6
	v_add_co_ci_u32_e32 v7, vcc_lo, s7, v7, vcc_lo
	s_mov_b32 s13, s12
	s_delay_alu instid0(VALU_DEP_2)
	v_readfirstlane_b32 s6, v6
	v_add_co_u32 v6, vcc_lo, v6, v39
	s_mov_b32 s14, s12
	s_mov_b32 s15, s12
	v_and_or_b32 v0, 0xffffff1f, v0, 32
	v_dual_mov_b32 v3, v2 :: v_dual_mov_b32 v12, s12
	v_readfirstlane_b32 s7, v7
	v_add_co_ci_u32_e32 v7, vcc_lo, 0, v7, vcc_lo
	v_dual_mov_b32 v13, s13 :: v_dual_mov_b32 v14, s14
	v_mov_b32_e32 v15, s15
	s_clause 0x3
	global_store_b128 v39, v[0:3], s[6:7]
	global_store_b128 v39, v[12:15], s[6:7] offset:16
	global_store_b128 v39, v[12:15], s[6:7] offset:32
	;; [unrolled: 1-line block ×3, first 2 shown]
	s_and_saveexec_b32 s6, s0
	s_cbranch_execz .LBB14_380
; %bb.373:
	v_dual_mov_b32 v12, 0 :: v_dual_mov_b32 v13, s4
	v_mov_b32_e32 v14, s5
	s_clause 0x1
	global_load_b64 v[15:16], v12, s[2:3] offset:32 glc
	global_load_b64 v[0:1], v12, s[2:3] offset:40
	s_waitcnt vmcnt(0)
	v_readfirstlane_b32 s10, v0
	v_readfirstlane_b32 s11, v1
	s_delay_alu instid0(VALU_DEP_1) | instskip(NEXT) | instid1(SALU_CYCLE_1)
	s_and_b64 s[10:11], s[10:11], s[4:5]
	s_mul_i32 s7, s11, 24
	s_mul_hi_u32 s11, s10, 24
	s_mul_i32 s10, s10, 24
	s_add_i32 s11, s11, s7
	v_add_co_u32 v4, vcc_lo, v4, s10
	v_add_co_ci_u32_e32 v5, vcc_lo, s11, v5, vcc_lo
	s_mov_b32 s7, exec_lo
	global_store_b64 v[4:5], v[15:16], off
	s_waitcnt_vscnt null, 0x0
	global_atomic_cmpswap_b64 v[2:3], v12, v[13:16], s[2:3] offset:32 glc
	s_waitcnt vmcnt(0)
	v_cmpx_ne_u64_e64 v[2:3], v[15:16]
	s_cbranch_execz .LBB14_376
; %bb.374:
	s_mov_b32 s10, 0
.LBB14_375:                             ; =>This Inner Loop Header: Depth=1
	v_dual_mov_b32 v0, s4 :: v_dual_mov_b32 v1, s5
	s_sleep 1
	global_store_b64 v[4:5], v[2:3], off
	s_waitcnt_vscnt null, 0x0
	global_atomic_cmpswap_b64 v[0:1], v12, v[0:3], s[2:3] offset:32 glc
	s_waitcnt vmcnt(0)
	v_cmp_eq_u64_e32 vcc_lo, v[0:1], v[2:3]
	v_dual_mov_b32 v3, v1 :: v_dual_mov_b32 v2, v0
	s_or_b32 s10, vcc_lo, s10
	s_delay_alu instid0(SALU_CYCLE_1)
	s_and_not1_b32 exec_lo, exec_lo, s10
	s_cbranch_execnz .LBB14_375
.LBB14_376:
	s_or_b32 exec_lo, exec_lo, s7
	v_mov_b32_e32 v3, 0
	s_mov_b32 s10, exec_lo
	s_mov_b32 s7, exec_lo
	v_mbcnt_lo_u32_b32 v2, s10, 0
	global_load_b64 v[0:1], v3, s[2:3] offset:16
	v_cmpx_eq_u32_e32 0, v2
	s_cbranch_execz .LBB14_378
; %bb.377:
	s_bcnt1_i32_b32 s10, s10
	s_delay_alu instid0(SALU_CYCLE_1)
	v_mov_b32_e32 v2, s10
	s_waitcnt vmcnt(0)
	global_atomic_add_u64 v[0:1], v[2:3], off offset:8
.LBB14_378:
	s_or_b32 exec_lo, exec_lo, s7
	s_waitcnt vmcnt(0)
	global_load_b64 v[2:3], v[0:1], off offset:16
	s_waitcnt vmcnt(0)
	v_cmp_eq_u64_e32 vcc_lo, 0, v[2:3]
	s_cbranch_vccnz .LBB14_380
; %bb.379:
	global_load_b32 v0, v[0:1], off offset:24
	s_waitcnt vmcnt(0)
	v_dual_mov_b32 v1, 0 :: v_dual_and_b32 v4, 0xffffff, v0
	s_waitcnt_vscnt null, 0x0
	global_store_b64 v[2:3], v[0:1], off
	v_readfirstlane_b32 m0, v4
	s_sendmsg sendmsg(MSG_INTERRUPT)
.LBB14_380:
	s_or_b32 exec_lo, exec_lo, s6
	s_branch .LBB14_384
	.p2align	6
.LBB14_381:                             ;   in Loop: Header=BB14_384 Depth=1
	s_or_b32 exec_lo, exec_lo, s6
	s_delay_alu instid0(VALU_DEP_1) | instskip(NEXT) | instid1(VALU_DEP_1)
	v_readfirstlane_b32 s6, v0
	s_cmp_eq_u32 s6, 0
	s_cbranch_scc1 .LBB14_383
; %bb.382:                              ;   in Loop: Header=BB14_384 Depth=1
	s_sleep 1
	s_cbranch_execnz .LBB14_384
	s_branch .LBB14_386
	.p2align	6
.LBB14_383:
	s_branch .LBB14_386
.LBB14_384:                             ; =>This Inner Loop Header: Depth=1
	v_mov_b32_e32 v0, 1
	s_and_saveexec_b32 s6, s0
	s_cbranch_execz .LBB14_381
; %bb.385:                              ;   in Loop: Header=BB14_384 Depth=1
	global_load_b32 v0, v[10:11], off offset:20 glc
	s_waitcnt vmcnt(0)
	buffer_gl1_inv
	buffer_gl0_inv
	v_and_b32_e32 v0, 1, v0
	s_branch .LBB14_381
.LBB14_386:
	global_load_b64 v[0:1], v[6:7], off
	s_and_saveexec_b32 s6, s0
	s_cbranch_execz .LBB14_390
; %bb.387:
	v_mov_b32_e32 v10, 0
	s_clause 0x2
	global_load_b64 v[4:5], v10, s[2:3] offset:40
	global_load_b64 v[11:12], v10, s[2:3] offset:24 glc
	global_load_b64 v[6:7], v10, s[2:3]
	s_waitcnt vmcnt(2)
	v_add_co_u32 v13, vcc_lo, v4, 1
	v_add_co_ci_u32_e32 v14, vcc_lo, 0, v5, vcc_lo
	s_delay_alu instid0(VALU_DEP_2) | instskip(NEXT) | instid1(VALU_DEP_2)
	v_add_co_u32 v2, vcc_lo, v13, s4
	v_add_co_ci_u32_e32 v3, vcc_lo, s5, v14, vcc_lo
	s_delay_alu instid0(VALU_DEP_1) | instskip(SKIP_1) | instid1(VALU_DEP_1)
	v_cmp_eq_u64_e32 vcc_lo, 0, v[2:3]
	v_dual_cndmask_b32 v3, v3, v14 :: v_dual_cndmask_b32 v2, v2, v13
	v_and_b32_e32 v5, v3, v5
	s_delay_alu instid0(VALU_DEP_2) | instskip(NEXT) | instid1(VALU_DEP_2)
	v_and_b32_e32 v4, v2, v4
	v_mul_lo_u32 v5, v5, 24
	s_delay_alu instid0(VALU_DEP_2) | instskip(SKIP_1) | instid1(VALU_DEP_2)
	v_mul_hi_u32 v13, v4, 24
	v_mul_lo_u32 v4, v4, 24
	v_add_nc_u32_e32 v5, v13, v5
	s_waitcnt vmcnt(0)
	s_delay_alu instid0(VALU_DEP_2) | instskip(SKIP_1) | instid1(VALU_DEP_3)
	v_add_co_u32 v6, vcc_lo, v6, v4
	v_mov_b32_e32 v4, v11
	v_add_co_ci_u32_e32 v7, vcc_lo, v7, v5, vcc_lo
	v_mov_b32_e32 v5, v12
	global_store_b64 v[6:7], v[11:12], off
	s_waitcnt_vscnt null, 0x0
	global_atomic_cmpswap_b64 v[4:5], v10, v[2:5], s[2:3] offset:24 glc
	s_waitcnt vmcnt(0)
	v_cmp_ne_u64_e32 vcc_lo, v[4:5], v[11:12]
	s_and_b32 exec_lo, exec_lo, vcc_lo
	s_cbranch_execz .LBB14_390
; %bb.388:
	s_mov_b32 s0, 0
.LBB14_389:                             ; =>This Inner Loop Header: Depth=1
	s_sleep 1
	global_store_b64 v[6:7], v[4:5], off
	s_waitcnt_vscnt null, 0x0
	global_atomic_cmpswap_b64 v[11:12], v10, v[2:5], s[2:3] offset:24 glc
	s_waitcnt vmcnt(0)
	v_cmp_eq_u64_e32 vcc_lo, v[11:12], v[4:5]
	v_dual_mov_b32 v4, v11 :: v_dual_mov_b32 v5, v12
	s_or_b32 s0, vcc_lo, s0
	s_delay_alu instid0(SALU_CYCLE_1)
	s_and_not1_b32 exec_lo, exec_lo, s0
	s_cbranch_execnz .LBB14_389
.LBB14_390:
	s_or_b32 exec_lo, exec_lo, s6
.LBB14_391:
	s_delay_alu instid0(SALU_CYCLE_1)
	s_or_b32 exec_lo, exec_lo, s1
	s_waitcnt vmcnt(0)
	v_dual_mov_b32 v2, v8 :: v_dual_mov_b32 v3, v9
	s_mov_b32 s0, 0
.LBB14_392:                             ; =>This Inner Loop Header: Depth=1
	flat_load_u8 v6, v[2:3]
	v_add_co_u32 v4, vcc_lo, v2, 1
	v_add_co_ci_u32_e32 v5, vcc_lo, 0, v3, vcc_lo
	s_delay_alu instid0(VALU_DEP_1) | instskip(SKIP_3) | instid1(SALU_CYCLE_1)
	v_dual_mov_b32 v2, v4 :: v_dual_mov_b32 v3, v5
	s_waitcnt vmcnt(0) lgkmcnt(0)
	v_cmp_eq_u16_e32 vcc_lo, 0, v6
	s_or_b32 s0, vcc_lo, s0
	s_and_not1_b32 exec_lo, exec_lo, s0
	s_cbranch_execnz .LBB14_392
; %bb.393:
	s_or_b32 exec_lo, exec_lo, s0
	v_sub_nc_u32_e32 v4, v4, v8
	v_dual_mov_b32 v2, v8 :: v_dual_mov_b32 v3, v9
	v_mov_b32_e32 v6, 1
	s_getpc_b64 s[0:1]
	s_add_u32 s0, s0, __ockl_fprintf_append_string_n@rel32@lo+4
	s_addc_u32 s1, s1, __ockl_fprintf_append_string_n@rel32@hi+12
	v_ashrrev_i32_e32 v5, 31, v4
	s_swappc_b64 s[30:31], s[0:1]
	s_trap 2
	s_sendmsg_rtn_b32 s0, sendmsg(MSG_RTN_GET_DOORBELL)
	s_mov_b32 ttmp2, m0
	s_waitcnt lgkmcnt(0)
	s_and_b32 s0, s0, 0x3ff
	s_delay_alu instid0(SALU_CYCLE_1) | instskip(NEXT) | instid1(SALU_CYCLE_1)
	s_bitset1_b32 s0, 10
	s_mov_b32 m0, s0
	s_sendmsg sendmsg(MSG_INTERRUPT)
	s_mov_b32 m0, ttmp2
.LBB14_394:                             ; =>This Inner Loop Header: Depth=1
	s_sethalt 5
	s_branch .LBB14_394
.Lfunc_end14:
	.size	__assert_fail, .Lfunc_end14-__assert_fail
                                        ; -- End function
	.section	.AMDGPU.csdata,"",@progbits
; Function info:
; codeLenInByte = 16136
; NumSgprs: 36
; NumVgprs: 51
; ScratchSize: 64
; MemoryBound: 0
	.section	.text._ZN9rocsolver6v33100L11stedcx_sortIffPfEEviPT0_lT1_iiliPiS6_,"axG",@progbits,_ZN9rocsolver6v33100L11stedcx_sortIffPfEEviPT0_lT1_iiliPiS6_,comdat
	.globl	_ZN9rocsolver6v33100L11stedcx_sortIffPfEEviPT0_lT1_iiliPiS6_ ; -- Begin function _ZN9rocsolver6v33100L11stedcx_sortIffPfEEviPT0_lT1_iiliPiS6_
	.p2align	8
	.type	_ZN9rocsolver6v33100L11stedcx_sortIffPfEEviPT0_lT1_iiliPiS6_,@function
_ZN9rocsolver6v33100L11stedcx_sortIffPfEEviPT0_lT1_iiliPiS6_: ; @_ZN9rocsolver6v33100L11stedcx_sortIffPfEEviPT0_lT1_iiliPiS6_
; %bb.0:
	s_load_b32 s30, s[0:1], 0x30
	s_mov_b32 s32, 0
	s_waitcnt lgkmcnt(0)
	s_cmp_ge_i32 s15, s30
	s_cbranch_scc1 .LBB15_69
; %bb.1:
	s_mov_b32 s16, s15
	s_clause 0x4
	s_load_b32 s18, s[0:1], 0x0
	s_load_b128 s[4:7], s[0:1], 0x38
	s_load_b256 s[8:15], s[0:1], 0x8
	s_load_b64 s[20:21], s[0:1], 0x28
	s_load_b32 s31, s[0:1], 0x50
	v_dual_mov_b32 v1, 0 :: v_dual_and_b32 v2, 0x3ff, v0
	v_bfe_u32 v3, v0, 10, 10
	v_bfe_u32 v4, v0, 20, 10
	s_mov_b32 s23, 0
	s_mov_b32 s44, 0
                                        ; implicit-def: $sgpr45
                                        ; implicit-def: $sgpr41
                                        ; implicit-def: $sgpr46
                                        ; implicit-def: $sgpr47
	s_delay_alu instid0(VALU_DEP_1)
	v_or3_b32 v0, v3, v4, v2
	s_waitcnt lgkmcnt(0)
	s_ashr_i32 s19, s18, 31
	s_mul_hi_i32 s3, s18, s16
	s_mul_i32 s2, s18, s16
	s_add_u32 s24, s0, 0x48
	s_addc_u32 s25, s1, 0
	s_lshl_b64 s[2:3], s[2:3], 2
	v_cmp_gt_i64_e64 s19, s[18:19], 0
	s_add_u32 s33, s4, s2
	s_addc_u32 s34, s5, s3
	s_cmp_lg_u64 s[12:13], 0
	s_mov_b32 s2, s14
	s_cselect_b32 s35, -1, 0
	s_ashr_i32 s3, s14, 31
	s_mov_b32 s43, s15
	s_lshl_b64 s[26:27], s[2:3], 2
	v_cmp_eq_u32_e64 s2, 0, v0
	s_add_u32 s36, s12, s26
	s_addc_u32 s37, s13, s27
	s_cmp_lg_u64 s[6:7], 0
	s_cselect_b32 s38, -1, 0
	s_cmp_eq_u64 s[8:9], 0
	s_cselect_b32 s39, -1, 0
	s_cmp_lg_u64 s[4:5], 0
	s_cselect_b32 s40, -1, 0
	s_cmp_gt_i32 s15, 0
	s_cselect_b32 s42, -1, 0
	s_branch .LBB15_4
.LBB15_2:                               ;   in Loop: Header=BB15_4 Depth=1
	s_or_b32 exec_lo, exec_lo, s12
	s_delay_alu instid0(SALU_CYCLE_1)
	s_and_not1_b32 s4, s47, exec_lo
	s_and_b32 s12, s14, exec_lo
	s_and_not1_b32 s13, s46, exec_lo
	s_and_b32 s3, s3, exec_lo
	s_or_b32 s47, s4, s12
	s_or_b32 s46, s13, s3
	s_or_not1_b32 s49, s17, exec_lo
.LBB15_3:                               ;   in Loop: Header=BB15_4 Depth=1
	s_or_b32 exec_lo, exec_lo, s5
	s_delay_alu instid0(SALU_CYCLE_1) | instskip(NEXT) | instid1(SALU_CYCLE_1)
	s_and_b32 s3, exec_lo, s49
	s_or_b32 s44, s3, s44
	s_and_not1_b32 s3, s41, exec_lo
	s_and_b32 s4, s47, exec_lo
	s_and_not1_b32 s5, s45, exec_lo
	s_and_b32 s12, s46, exec_lo
	s_or_b32 s41, s3, s4
	s_or_b32 s45, s5, s12
	s_and_not1_b32 exec_lo, exec_lo, s44
	s_cbranch_execz .LBB15_65
.LBB15_4:                               ; =>This Loop Header: Depth=1
                                        ;     Child Loop BB15_11 Depth 2
                                        ;     Child Loop BB15_15 Depth 2
                                        ;       Child Loop BB15_18 Depth 3
                                        ;         Child Loop BB15_22 Depth 4
                                        ;     Child Loop BB15_32 Depth 2
                                        ;     Child Loop BB15_46 Depth 2
                                        ;       Child Loop BB15_48 Depth 3
                                        ;         Child Loop BB15_53 Depth 4
                                        ;     Child Loop BB15_57 Depth 2
	s_ashr_i32 s17, s16, 31
	s_and_not1_b32 vcc_lo, exec_lo, s35
	s_mov_b64 s[12:13], 0
	s_cbranch_vccnz .LBB15_6
; %bb.5:                                ;   in Loop: Header=BB15_4 Depth=1
	s_mul_i32 s3, s16, s21
	s_mul_hi_u32 s4, s16, s20
	s_mul_i32 s5, s17, s20
	s_add_i32 s3, s4, s3
	s_mul_i32 s4, s16, s20
	s_add_i32 s5, s3, s5
	s_delay_alu instid0(SALU_CYCLE_1) | instskip(NEXT) | instid1(SALU_CYCLE_1)
	s_lshl_b64 s[4:5], s[4:5], 2
	s_add_u32 s12, s36, s4
	s_addc_u32 s13, s37, s5
.LBB15_6:                               ;   in Loop: Header=BB15_4 Depth=1
	s_and_not1_b32 vcc_lo, exec_lo, s38
	s_mov_b32 s48, s18
	s_cbranch_vccnz .LBB15_8
; %bb.7:                                ;   in Loop: Header=BB15_4 Depth=1
	s_lshl_b64 s[4:5], s[16:17], 2
	s_delay_alu instid0(SALU_CYCLE_1)
	s_add_u32 s4, s6, s4
	s_addc_u32 s5, s7, s5
	global_load_b32 v0, v1, s[4:5]
	s_waitcnt vmcnt(0)
	v_readfirstlane_b32 s48, v0
.LBB15_8:                               ;   in Loop: Header=BB15_4 Depth=1
	s_delay_alu instid0(VALU_DEP_1) | instskip(SKIP_4) | instid1(SALU_CYCLE_1)
	s_cmp_lt_i32 s48, 1
	s_mov_b32 s49, -1
	s_cselect_b32 s3, -1, 0
	s_mov_b32 s4, -1
	s_or_b32 s3, s39, s3
	s_and_b32 vcc_lo, exec_lo, s3
	s_barrier
	buffer_gl0_inv
                                        ; implicit-def: $sgpr3
                                        ; implicit-def: $sgpr14
	s_cbranch_vccnz .LBB15_41
; %bb.9:                                ;   in Loop: Header=BB15_4 Depth=1
	s_load_b64 s[4:5], s[24:25], 0xc
	s_waitcnt lgkmcnt(0)
	s_barrier
	buffer_gl0_inv
	s_lshr_b32 s3, s4, 16
	s_and_b32 s4, s4, 0xffff
	s_delay_alu instid0(SALU_CYCLE_1) | instskip(SKIP_3) | instid1(SALU_CYCLE_1)
	s_mul_i32 s50, s3, s4
	v_mul_u32_u24_e32 v5, s4, v3
	v_mul_lo_u32 v0, s50, v4
	s_and_b32 s3, s5, 0xffff
	s_mul_i32 s50, s50, s3
	s_delay_alu instid0(VALU_DEP_1) | instskip(NEXT) | instid1(VALU_DEP_1)
	v_add3_u32 v5, v5, v2, v0
	v_cmp_gt_u32_e32 vcc_lo, s48, v5
	s_and_b32 s4, s40, vcc_lo
	s_delay_alu instid0(SALU_CYCLE_1)
	s_and_saveexec_b32 s3, s4
	s_cbranch_execz .LBB15_12
; %bb.10:                               ;   in Loop: Header=BB15_4 Depth=1
	v_mov_b32_e32 v0, v5
	s_mov_b32 s4, 0
.LBB15_11:                              ;   Parent Loop BB15_4 Depth=1
                                        ; =>  This Inner Loop Header: Depth=2
	s_delay_alu instid0(VALU_DEP_1) | instskip(NEXT) | instid1(VALU_DEP_1)
	v_lshlrev_b64 v[6:7], 2, v[0:1]
	v_add_co_u32 v6, vcc_lo, s33, v6
	s_delay_alu instid0(VALU_DEP_2) | instskip(SKIP_2) | instid1(VALU_DEP_1)
	v_add_co_ci_u32_e32 v7, vcc_lo, s34, v7, vcc_lo
	global_store_b32 v[6:7], v0, off
	v_add_nc_u32_e32 v0, s50, v0
	v_cmp_le_u32_e32 vcc_lo, s48, v0
	s_or_b32 s4, vcc_lo, s4
	s_delay_alu instid0(SALU_CYCLE_1)
	s_and_not1_b32 exec_lo, exec_lo, s4
	s_cbranch_execnz .LBB15_11
.LBB15_12:                              ;   in Loop: Header=BB15_4 Depth=1
	s_or_b32 exec_lo, exec_lo, s3
	s_mul_i32 s3, s16, s11
	s_mul_hi_u32 s4, s16, s10
	s_mul_i32 s5, s17, s10
	s_add_i32 s3, s4, s3
	s_mul_i32 s4, s16, s10
	s_add_i32 s5, s3, s5
	s_waitcnt_vscnt null, 0x0
	s_lshl_b64 s[4:5], s[4:5], 2
	s_barrier
	s_add_u32 s17, s8, s4
	s_addc_u32 s51, s9, s5
	buffer_gl0_inv
	s_and_saveexec_b32 s3, s2
	s_cbranch_execz .LBB15_28
; %bb.13:                               ;   in Loop: Header=BB15_4 Depth=1
	s_mov_b32 s22, 0
	s_branch .LBB15_15
.LBB15_14:                              ;   in Loop: Header=BB15_15 Depth=2
	s_add_i32 s22, s22, 1
	s_delay_alu instid0(SALU_CYCLE_1)
	s_cmp_eq_u32 s22, 8
	s_cbranch_scc1 .LBB15_28
.LBB15_15:                              ;   Parent Loop BB15_4 Depth=1
                                        ; =>  This Loop Header: Depth=2
                                        ;       Child Loop BB15_18 Depth 3
                                        ;         Child Loop BB15_22 Depth 4
	s_getpc_b64 s[4:5]
	s_add_u32 s4, s4, __const._ZN9rocsolver6v33100L20shell_sort_ascendingIfiEEvT0_PT_PS2_.gaps@rel32@lo+4
	s_addc_u32 s5, s5, __const._ZN9rocsolver6v33100L20shell_sort_ascendingIfiEEvT0_PT_PS2_.gaps@rel32@hi+12
	s_lshl_b64 s[14:15], s[22:23], 2
	s_delay_alu instid0(SALU_CYCLE_1)
	s_add_u32 s4, s14, s4
	s_addc_u32 s5, s15, s5
	s_load_b32 s52, s[4:5], 0x0
	s_waitcnt lgkmcnt(0)
	s_cmp_ge_i32 s52, s48
	s_cbranch_scc1 .LBB15_14
; %bb.16:                               ;   in Loop: Header=BB15_15 Depth=2
	s_mov_b32 s53, 0
	s_mov_b32 s4, s52
	s_branch .LBB15_18
.LBB15_17:                              ;   in Loop: Header=BB15_18 Depth=3
	s_add_i32 s4, s4, 1
	s_add_i32 s53, s53, 1
	s_cmp_ge_i32 s4, s48
	s_cbranch_scc1 .LBB15_14
.LBB15_18:                              ;   Parent Loop BB15_4 Depth=1
                                        ;     Parent Loop BB15_15 Depth=2
                                        ; =>    This Loop Header: Depth=3
                                        ;         Child Loop BB15_22 Depth 4
	s_ashr_i32 s5, s4, 31
	s_delay_alu instid0(SALU_CYCLE_1) | instskip(NEXT) | instid1(SALU_CYCLE_1)
	s_lshl_b64 s[14:15], s[4:5], 2
	s_add_u32 s26, s17, s14
	s_addc_u32 s27, s51, s15
	s_and_not1_b32 vcc_lo, exec_lo, s40
	global_load_b32 v0, v1, s[26:27]
	s_cbranch_vccnz .LBB15_20
; %bb.19:                               ;   in Loop: Header=BB15_18 Depth=3
	s_add_u32 s14, s33, s14
	s_addc_u32 s15, s34, s15
	global_load_b32 v6, v1, s[14:15]
	s_cmp_lt_i32 s4, s52
	s_mov_b64 s[26:27], s[4:5]
	s_mov_b32 s14, s53
	s_cbranch_scc0 .LBB15_22
	s_branch .LBB15_26
.LBB15_20:                              ;   in Loop: Header=BB15_18 Depth=3
	v_mov_b32_e32 v6, 0
	s_cmp_lt_i32 s4, s52
	s_mov_b64 s[26:27], s[4:5]
	s_mov_b32 s14, s53
	s_cbranch_scc0 .LBB15_22
	s_branch .LBB15_26
	.p2align	6
.LBB15_21:                              ;   in Loop: Header=BB15_22 Depth=4
                                        ; implicit-def: $sgpr14
	s_cbranch_execnz .LBB15_26
.LBB15_22:                              ;   Parent Loop BB15_4 Depth=1
                                        ;     Parent Loop BB15_15 Depth=2
                                        ;       Parent Loop BB15_18 Depth=3
                                        ; =>      This Inner Loop Header: Depth=4
	s_ashr_i32 s15, s14, 31
	s_add_i32 s26, s52, s14
	s_lshl_b64 s[28:29], s[14:15], 2
	s_delay_alu instid0(SALU_CYCLE_1)
	s_add_u32 s54, s17, s28
	s_addc_u32 s55, s51, s29
	s_ashr_i32 s27, s26, 31
	global_load_b32 v7, v1, s[54:55]
	s_waitcnt vmcnt(0)
	v_cmp_ngt_f32_e32 vcc_lo, v7, v0
	s_cbranch_vccnz .LBB15_21
; %bb.23:                               ;   in Loop: Header=BB15_22 Depth=4
	s_lshl_b64 s[26:27], s[26:27], 2
	s_delay_alu instid0(SALU_CYCLE_1)
	s_add_u32 s54, s17, s26
	s_addc_u32 s55, s51, s27
	s_and_not1_b32 vcc_lo, exec_lo, s40
	global_store_b32 v1, v7, s[54:55]
	s_cbranch_vccnz .LBB15_25
; %bb.24:                               ;   in Loop: Header=BB15_22 Depth=4
	s_add_u32 s26, s33, s26
	s_addc_u32 s27, s34, s27
	s_add_u32 s28, s33, s28
	s_addc_u32 s29, s34, s29
	global_load_b32 v7, v1, s[28:29]
	s_waitcnt vmcnt(0)
	global_store_b32 v1, v7, s[26:27]
.LBB15_25:                              ;   in Loop: Header=BB15_22 Depth=4
	s_sub_i32 s28, s14, s52
	s_cmp_lt_i32 s14, s52
	s_mov_b64 s[26:27], s[14:15]
	s_cselect_b32 s5, -1, 0
	s_mov_b32 s14, s28
	s_and_b32 vcc_lo, exec_lo, s5
	s_cbranch_vccz .LBB15_22
.LBB15_26:                              ;   in Loop: Header=BB15_18 Depth=3
	s_lshl_b64 s[14:15], s[26:27], 2
	s_delay_alu instid0(SALU_CYCLE_1)
	s_add_u32 s26, s17, s14
	s_addc_u32 s27, s51, s15
	s_and_not1_b32 vcc_lo, exec_lo, s40
	s_waitcnt vmcnt(0)
	global_store_b32 v1, v0, s[26:27]
	s_cbranch_vccnz .LBB15_17
; %bb.27:                               ;   in Loop: Header=BB15_18 Depth=3
	s_add_u32 s14, s33, s14
	s_addc_u32 s15, s34, s15
	global_store_b32 v1, v6, s[14:15]
	s_branch .LBB15_17
.LBB15_28:                              ;   in Loop: Header=BB15_4 Depth=1
	s_or_b32 exec_lo, exec_lo, s3
	s_cmp_lt_i32 s48, 2
	s_waitcnt_vscnt null, 0x0
	s_cselect_b32 s15, -1, 0
	s_barrier
	s_and_b32 vcc_lo, exec_lo, s15
	buffer_gl0_inv
	s_cbranch_vccnz .LBB15_36
; %bb.29:                               ;   in Loop: Header=BB15_4 Depth=1
	s_add_i32 s5, s48, -1
	s_mov_b32 s15, -1
	s_mov_b32 s4, exec_lo
                                        ; implicit-def: $sgpr3
                                        ; implicit-def: $sgpr14
	v_cmpx_gt_u32_e64 s5, v5
	s_cbranch_execz .LBB15_38
; %bb.30:                               ;   in Loop: Header=BB15_4 Depth=1
	v_mov_b32_e32 v0, v5
	s_add_u32 s14, s17, 4
	s_addc_u32 s22, s51, 0
	s_mov_b32 s15, 0
                                        ; implicit-def: $sgpr27
                                        ; implicit-def: $sgpr28
                                        ; implicit-def: $sgpr26
	s_branch .LBB15_32
.LBB15_31:                              ;   in Loop: Header=BB15_32 Depth=2
	s_or_b32 exec_lo, exec_lo, s55
	s_xor_b32 s52, s54, -1
	s_and_b32 s53, exec_lo, s53
	s_delay_alu instid0(SALU_CYCLE_1)
	s_or_b32 s15, s53, s15
	s_and_not1_b32 s26, s26, exec_lo
	s_and_b32 s52, s52, exec_lo
	s_and_not1_b32 s28, s28, exec_lo
	s_and_b32 s29, s29, exec_lo
	;; [unrolled: 2-line block ×3, first 2 shown]
	s_or_b32 s26, s26, s52
	s_or_b32 s28, s28, s29
	;; [unrolled: 1-line block ×3, first 2 shown]
	s_and_not1_b32 exec_lo, exec_lo, s15
	s_cbranch_execz .LBB15_37
.LBB15_32:                              ;   Parent Loop BB15_4 Depth=1
                                        ; =>  This Inner Loop Header: Depth=2
	v_lshlrev_b64 v[5:6], 2, v[0:1]
	s_mov_b32 s53, exec_lo
                                        ; implicit-def: $sgpr29
                                        ; implicit-def: $sgpr3
	s_delay_alu instid0(VALU_DEP_1) | instskip(NEXT) | instid1(VALU_DEP_2)
	v_add_co_u32 v5, vcc_lo, s17, v5
	v_add_co_ci_u32_e32 v6, vcc_lo, s51, v6, vcc_lo
	global_load_b32 v5, v[5:6], off
	s_waitcnt vmcnt(0)
	v_cmp_u_f32_e64 s52, v5, v5
	v_cmpx_o_f32_e32 v5, v5
	s_cbranch_execz .LBB15_34
; %bb.33:                               ;   in Loop: Header=BB15_32 Depth=2
	v_ashrrev_i32_e32 v7, 31, v0
	v_mov_b32_e32 v6, v0
	s_and_not1_b32 s52, s52, exec_lo
	s_delay_alu instid0(VALU_DEP_1) | instskip(NEXT) | instid1(VALU_DEP_1)
	v_lshlrev_b64 v[6:7], 2, v[6:7]
	v_add_co_u32 v6, vcc_lo, s14, v6
	s_delay_alu instid0(VALU_DEP_2) | instskip(SKIP_4) | instid1(VALU_DEP_1)
	v_add_co_ci_u32_e32 v7, vcc_lo, s22, v7, vcc_lo
	global_load_b32 v6, v[6:7], off
	s_waitcnt vmcnt(0)
	v_cmp_u_f32_e32 vcc_lo, v6, v6
	v_cmp_le_f32_e64 s3, v5, v6
	s_or_b32 s29, vcc_lo, s3
	s_mov_b32 s3, 0
	s_and_b32 s54, s29, exec_lo
	s_mov_b32 s29, -1
	s_or_b32 s52, s52, s54
.LBB15_34:                              ;   in Loop: Header=BB15_32 Depth=2
	s_or_b32 exec_lo, exec_lo, s53
	s_mov_b32 s53, -1
	s_mov_b32 s54, s29
	s_and_saveexec_b32 s55, s52
	s_cbranch_execz .LBB15_31
; %bb.35:                               ;   in Loop: Header=BB15_32 Depth=2
	v_add_nc_u32_e32 v0, s50, v0
	s_and_not1_b32 s54, s29, exec_lo
	s_delay_alu instid0(VALU_DEP_1)
	v_cmp_le_u32_e32 vcc_lo, s5, v0
	s_or_not1_b32 s53, vcc_lo, exec_lo
	s_branch .LBB15_31
.LBB15_36:                              ;   in Loop: Header=BB15_4 Depth=1
                                        ; implicit-def: $sgpr3
                                        ; implicit-def: $sgpr14
	s_mov_b32 s4, 0
	s_and_saveexec_b32 s5, s15
	s_cbranch_execnz .LBB15_39
	s_branch .LBB15_40
.LBB15_37:                              ;   in Loop: Header=BB15_4 Depth=1
	s_or_b32 exec_lo, exec_lo, s15
	s_delay_alu instid0(SALU_CYCLE_1)
	s_and_b32 s14, s27, exec_lo
	s_and_b32 s3, s28, exec_lo
	s_or_not1_b32 s15, s26, exec_lo
.LBB15_38:                              ;   in Loop: Header=BB15_4 Depth=1
	s_or_b32 exec_lo, exec_lo, s4
	s_mov_b32 s4, 0
	s_and_saveexec_b32 s5, s15
	s_cbranch_execz .LBB15_40
.LBB15_39:                              ;   in Loop: Header=BB15_4 Depth=1
	s_mov_b32 s4, exec_lo
	s_and_not1_b32 s14, s14, exec_lo
	s_and_not1_b32 s3, s3, exec_lo
	s_barrier
	buffer_gl0_inv
.LBB15_40:                              ;   in Loop: Header=BB15_4 Depth=1
	s_or_b32 exec_lo, exec_lo, s5
.LBB15_41:                              ;   in Loop: Header=BB15_4 Depth=1
	s_delay_alu instid0(SALU_CYCLE_1)
	s_and_not1_b32 s5, s47, exec_lo
	s_and_b32 s14, s14, exec_lo
	s_and_not1_b32 s15, s46, exec_lo
	s_and_b32 s3, s3, exec_lo
	s_or_b32 s47, s5, s14
	s_or_b32 s46, s15, s3
	s_and_saveexec_b32 s5, s4
	s_cbranch_execz .LBB15_3
; %bb.42:                               ;   in Loop: Header=BB15_4 Depth=1
	s_cmp_lg_u64 s[12:13], 0
	s_mov_b32 s17, -1
	s_cselect_b32 s3, -1, 0
	s_mov_b32 s4, -1
	s_and_b32 s3, s19, s3
	s_delay_alu instid0(SALU_CYCLE_1)
	s_and_b32 s3, s42, s3
	s_barrier
	s_and_b32 s3, s40, s3
	buffer_gl0_inv
	s_and_b32 vcc_lo, exec_lo, s3
                                        ; implicit-def: $sgpr14
                                        ; implicit-def: $sgpr3
	s_cbranch_vccz .LBB15_63
; %bb.43:                               ;   in Loop: Header=BB15_4 Depth=1
	s_load_b64 s[14:15], s[24:25], 0xc
	s_waitcnt lgkmcnt(0)
	s_lshr_b32 s3, s14, 16
	s_and_b32 s4, s14, 0xffff
	s_delay_alu instid0(SALU_CYCLE_1)
	s_mul_i32 s49, s3, s4
	v_mul_u32_u24_e32 v5, s4, v3
	v_mul_lo_u32 v0, s49, v4
	s_and_b32 s3, s15, 0xffff
	s_cmp_lt_i32 s48, 0
	s_mul_i32 s49, s49, s3
	s_cselect_b32 s48, s18, s48
	s_delay_alu instid0(SALU_CYCLE_1) | instskip(NEXT) | instid1(VALU_DEP_1)
	s_cmp_eq_u32 s48, 0
	v_add3_u32 v5, v5, v2, v0
	s_cbranch_scc1 .LBB15_54
; %bb.44:                               ;   in Loop: Header=BB15_4 Depth=1
	s_delay_alu instid0(VALU_DEP_1)
	v_cmp_eq_u32_e64 s3, 0, v5
	v_cmp_gt_u32_e64 s4, s18, v5
	s_mov_b32 s22, 0
	s_branch .LBB15_46
.LBB15_45:                              ;   in Loop: Header=BB15_46 Depth=2
	s_add_i32 s22, s22, 1
	s_delay_alu instid0(SALU_CYCLE_1)
	s_cmp_eq_u32 s22, s48
	s_cbranch_scc1 .LBB15_54
.LBB15_46:                              ;   Parent Loop BB15_4 Depth=1
                                        ; =>  This Loop Header: Depth=2
                                        ;       Child Loop BB15_48 Depth 3
                                        ;         Child Loop BB15_53 Depth 4
	s_lshl_b64 s[14:15], s[22:23], 2
	s_delay_alu instid0(SALU_CYCLE_1)
	s_add_u32 s14, s33, s14
	s_addc_u32 s15, s34, s15
	s_barrier
	s_branch .LBB15_48
.LBB15_47:                              ;   in Loop: Header=BB15_48 Depth=3
	s_or_b32 exec_lo, exec_lo, s28
	s_waitcnt lgkmcnt(0)
	s_waitcnt_vscnt null, 0x0
	s_barrier
.LBB15_48:                              ;   Parent Loop BB15_4 Depth=1
                                        ;     Parent Loop BB15_46 Depth=2
                                        ; =>    This Loop Header: Depth=3
                                        ;         Child Loop BB15_53 Depth 4
	buffer_gl0_inv
	global_load_b32 v0, v1, s[14:15]
	s_waitcnt vmcnt(0)
	v_cmp_eq_u32_e32 vcc_lo, s22, v0
	v_readfirstlane_b32 s26, v0
	s_cbranch_vccnz .LBB15_45
; %bb.49:                               ;   in Loop: Header=BB15_48 Depth=3
	s_delay_alu instid0(VALU_DEP_1) | instskip(NEXT) | instid1(SALU_CYCLE_1)
	s_ashr_i32 s27, s26, 31
	s_lshl_b64 s[28:29], s[26:27], 2
	s_delay_alu instid0(SALU_CYCLE_1)
	s_add_u32 s28, s33, s28
	s_addc_u32 s29, s34, s29
	global_load_b32 v0, v1, s[28:29]
	s_waitcnt vmcnt(0)
	s_barrier
	buffer_gl0_inv
	v_readfirstlane_b32 s50, v0
	s_and_saveexec_b32 s51, s3
; %bb.50:                               ;   in Loop: Header=BB15_48 Depth=3
	v_mov_b32_e32 v0, s26
	s_delay_alu instid0(VALU_DEP_2)
	v_mov_b32_e32 v6, s50
	s_clause 0x1
	global_store_b32 v1, v0, s[28:29]
	global_store_b32 v1, v6, s[14:15]
; %bb.51:                               ;   in Loop: Header=BB15_48 Depth=3
	s_or_b32 exec_lo, exec_lo, s51
	s_waitcnt_vscnt null, 0x0
	s_barrier
	buffer_gl0_inv
	s_and_saveexec_b32 s28, s4
	s_cbranch_execz .LBB15_47
; %bb.52:                               ;   in Loop: Header=BB15_48 Depth=3
	s_mul_i32 s27, s27, s43
	s_mul_hi_u32 s29, s26, s43
	s_mul_i32 s26, s26, s43
	s_add_i32 s27, s29, s27
	s_ashr_i32 s29, s50, 31
	s_mul_hi_u32 s51, s50, s43
	s_mul_i32 s29, s29, s43
	s_lshl_b64 s[26:27], s[26:27], 2
	s_add_i32 s51, s51, s29
	s_mul_i32 s50, s50, s43
	s_add_u32 s26, s12, s26
	s_addc_u32 s27, s13, s27
	s_lshl_b64 s[50:51], s[50:51], 2
	v_mov_b32_e32 v0, v5
	s_add_u32 s29, s12, s50
	s_addc_u32 s50, s13, s51
	s_mov_b32 s51, 0
	.p2align	6
.LBB15_53:                              ;   Parent Loop BB15_4 Depth=1
                                        ;     Parent Loop BB15_46 Depth=2
                                        ;       Parent Loop BB15_48 Depth=3
                                        ; =>      This Inner Loop Header: Depth=4
	s_delay_alu instid0(VALU_DEP_1) | instskip(SKIP_1) | instid1(VALU_DEP_2)
	v_lshlrev_b64 v[6:7], 2, v[0:1]
	v_add_nc_u32_e32 v0, s49, v0
	v_add_co_u32 v8, vcc_lo, s29, v6
	s_delay_alu instid0(VALU_DEP_3)
	v_add_co_ci_u32_e32 v9, vcc_lo, s50, v7, vcc_lo
	v_add_co_u32 v6, vcc_lo, s26, v6
	v_add_co_ci_u32_e32 v7, vcc_lo, s27, v7, vcc_lo
	v_cmp_le_u32_e32 vcc_lo, s18, v0
	s_clause 0x1
	flat_load_b32 v10, v[8:9]
	flat_load_b32 v11, v[6:7]
	s_waitcnt vmcnt(1) lgkmcnt(1)
	flat_store_b32 v[6:7], v10
	s_waitcnt vmcnt(0) lgkmcnt(1)
	flat_store_b32 v[8:9], v11
	s_or_b32 s51, vcc_lo, s51
	s_delay_alu instid0(SALU_CYCLE_1)
	s_and_not1_b32 exec_lo, exec_lo, s51
	s_cbranch_execnz .LBB15_53
	s_branch .LBB15_47
.LBB15_54:                              ;   in Loop: Header=BB15_4 Depth=1
	s_mov_b32 s12, -1
	s_mov_b32 s4, exec_lo
	s_barrier
	buffer_gl0_inv
                                        ; implicit-def: $sgpr14
                                        ; implicit-def: $sgpr3
	v_cmpx_gt_u32_e64 s48, v5
	s_cbranch_execz .LBB15_60
; %bb.55:                               ;   in Loop: Header=BB15_4 Depth=1
	v_mov_b32_e32 v0, v5
	s_mov_b32 s3, 0
                                        ; implicit-def: $sgpr12
                                        ; implicit-def: $sgpr14
                                        ; implicit-def: $sgpr13
	s_set_inst_prefetch_distance 0x1
	s_branch .LBB15_57
	.p2align	6
.LBB15_56:                              ;   in Loop: Header=BB15_57 Depth=2
	s_or_b32 exec_lo, exec_lo, s15
	s_xor_b32 s15, s13, -1
	s_and_b32 s22, exec_lo, s14
	s_delay_alu instid0(SALU_CYCLE_1) | instskip(SKIP_2) | instid1(SALU_CYCLE_1)
	s_or_b32 s3, s22, s3
	s_and_not1_b32 s12, s12, exec_lo
	s_and_b32 s15, s15, exec_lo
	s_or_b32 s12, s12, s15
	s_and_not1_b32 exec_lo, exec_lo, s3
	s_cbranch_execz .LBB15_59
.LBB15_57:                              ;   Parent Loop BB15_4 Depth=1
                                        ; =>  This Inner Loop Header: Depth=2
	s_delay_alu instid0(VALU_DEP_1) | instskip(SKIP_3) | instid1(VALU_DEP_1)
	v_lshlrev_b64 v[5:6], 2, v[0:1]
	s_or_b32 s13, s13, exec_lo
	s_or_b32 s14, s14, exec_lo
	s_mov_b32 s15, exec_lo
	v_add_co_u32 v5, vcc_lo, s33, v5
	s_delay_alu instid0(VALU_DEP_2)
	v_add_co_ci_u32_e32 v6, vcc_lo, s34, v6, vcc_lo
	global_load_b32 v5, v[5:6], off
	s_waitcnt vmcnt(0)
	v_cmpx_eq_u32_e64 v0, v5
	s_cbranch_execz .LBB15_56
; %bb.58:                               ;   in Loop: Header=BB15_57 Depth=2
	v_add_nc_u32_e32 v0, s49, v0
	s_and_not1_b32 s14, s14, exec_lo
	s_and_not1_b32 s13, s13, exec_lo
	s_delay_alu instid0(VALU_DEP_1) | instskip(SKIP_1) | instid1(SALU_CYCLE_1)
	v_cmp_le_u32_e32 vcc_lo, s48, v0
	s_and_b32 s22, vcc_lo, exec_lo
	s_or_b32 s14, s14, s22
	s_branch .LBB15_56
.LBB15_59:                              ;   in Loop: Header=BB15_4 Depth=1
	s_set_inst_prefetch_distance 0x2
	s_or_b32 exec_lo, exec_lo, s3
	s_mov_b32 s3, 0
	s_mov_b32 s14, -1
	s_or_not1_b32 s12, s12, exec_lo
.LBB15_60:                              ;   in Loop: Header=BB15_4 Depth=1
	s_or_b32 exec_lo, exec_lo, s4
	s_mov_b32 s4, 0
	s_and_saveexec_b32 s13, s12
	s_cbranch_execz .LBB15_62
; %bb.61:                               ;   in Loop: Header=BB15_4 Depth=1
	s_mov_b32 s4, exec_lo
	s_barrier
	buffer_gl0_inv
                                        ; implicit-def: $sgpr14
                                        ; implicit-def: $sgpr3
.LBB15_62:                              ;   in Loop: Header=BB15_4 Depth=1
	s_or_b32 exec_lo, exec_lo, s13
.LBB15_63:                              ;   in Loop: Header=BB15_4 Depth=1
	s_and_saveexec_b32 s12, s4
	s_cbranch_execz .LBB15_2
; %bb.64:                               ;   in Loop: Header=BB15_4 Depth=1
	s_add_i32 s16, s16, s31
	s_delay_alu instid0(SALU_CYCLE_1)
	s_cmp_ge_i32 s16, s30
	s_barrier
	s_cselect_b32 s4, -1, 0
	s_and_not1_b32 s14, s14, exec_lo
	s_and_not1_b32 s3, s3, exec_lo
	s_or_not1_b32 s17, s4, exec_lo
	buffer_gl0_inv
	s_branch .LBB15_2
.LBB15_65:
	s_or_b32 exec_lo, exec_lo, s44
	s_xor_b32 s2, s45, -1
	s_mov_b32 s21, 0
	s_and_saveexec_b32 s3, s2
	s_delay_alu instid0(SALU_CYCLE_1)
	s_xor_b32 s24, exec_lo, s3
	s_cbranch_execnz .LBB15_70
; %bb.66:
	s_and_not1_saveexec_b32 s22, s24
	s_cbranch_execnz .LBB15_73
.LBB15_67:
	s_or_b32 exec_lo, exec_lo, s22
	s_and_saveexec_b32 s0, s21
.LBB15_68:
	; divergent unreachable
.LBB15_69:
	s_endpgm
.LBB15_70:
	s_mov_b32 s2, 0
	s_and_saveexec_b32 s3, s41
	s_delay_alu instid0(SALU_CYCLE_1)
	s_xor_b32 s21, exec_lo, s3
	s_cbranch_execz .LBB15_72
; %bb.71:
	s_add_u32 s8, s0, 0x48
	s_addc_u32 s9, s1, 0
	s_getpc_b64 s[2:3]
	s_add_u32 s2, s2, .str.6@rel32@lo+4
	s_addc_u32 s3, s3, .str.6@rel32@hi+12
	s_getpc_b64 s[4:5]
	s_add_u32 s4, s4, __PRETTY_FUNCTION__._ZN9rocsolver6v33100L12permute_swapIfiEEvT0_PT_S2_PS2_S2_@rel32@lo+4
	s_addc_u32 s5, s5, __PRETTY_FUNCTION__._ZN9rocsolver6v33100L12permute_swapIfiEEvT0_PT_S2_PS2_S2_@rel32@hi+12
	v_dual_mov_b32 v0, s2 :: v_dual_mov_b32 v1, s3
	v_dual_mov_b32 v2, 0x25b :: v_dual_mov_b32 v3, s4
	v_mov_b32_e32 v4, s5
	s_getpc_b64 s[6:7]
	s_add_u32 s6, s6, __assert_fail@rel32@lo+4
	s_addc_u32 s7, s7, __assert_fail@rel32@hi+12
	s_mov_b64 s[22:23], s[0:1]
	s_swappc_b64 s[30:31], s[6:7]
	s_mov_b64 s[0:1], s[22:23]
	s_mov_b32 s2, exec_lo
.LBB15_72:
	s_or_b32 exec_lo, exec_lo, s21
	s_delay_alu instid0(SALU_CYCLE_1)
	s_and_b32 s21, s2, exec_lo
	s_and_not1_saveexec_b32 s22, s24
	s_cbranch_execz .LBB15_67
.LBB15_73:
	s_add_u32 s8, s0, 0x48
	s_addc_u32 s9, s1, 0
	s_getpc_b64 s[0:1]
	s_add_u32 s0, s0, .str.3@rel32@lo+4
	s_addc_u32 s1, s1, .str.3@rel32@hi+12
	s_getpc_b64 s[2:3]
	s_add_u32 s2, s2, __PRETTY_FUNCTION__._ZN9rocsolver6v33100L20shell_sort_ascendingIfiEEvT0_PT_PS2_@rel32@lo+4
	s_addc_u32 s3, s3, __PRETTY_FUNCTION__._ZN9rocsolver6v33100L20shell_sort_ascendingIfiEEvT0_PT_PS2_@rel32@hi+12
	v_dual_mov_b32 v0, s0 :: v_dual_mov_b32 v1, s1
	v_dual_mov_b32 v2, 0xea :: v_dual_mov_b32 v3, s2
	v_mov_b32_e32 v4, s3
	s_getpc_b64 s[4:5]
	s_add_u32 s4, s4, __assert_fail@rel32@lo+4
	s_addc_u32 s5, s5, __assert_fail@rel32@hi+12
	s_delay_alu instid0(SALU_CYCLE_1)
	s_swappc_b64 s[30:31], s[4:5]
	s_or_b32 s21, s21, exec_lo
	s_or_b32 exec_lo, exec_lo, s22
	s_and_saveexec_b32 s0, s21
	s_cbranch_execnz .LBB15_68
	s_branch .LBB15_69
	.section	.rodata,"a",@progbits
	.p2align	6, 0x0
	.amdhsa_kernel _ZN9rocsolver6v33100L11stedcx_sortIffPfEEviPT0_lT1_iiliPiS6_
		.amdhsa_group_segment_fixed_size 0
		.amdhsa_private_segment_fixed_size 64
		.amdhsa_kernarg_size 328
		.amdhsa_user_sgpr_count 14
		.amdhsa_user_sgpr_dispatch_ptr 0
		.amdhsa_user_sgpr_queue_ptr 0
		.amdhsa_user_sgpr_kernarg_segment_ptr 1
		.amdhsa_user_sgpr_dispatch_id 0
		.amdhsa_user_sgpr_private_segment_size 0
		.amdhsa_wavefront_size32 1
		.amdhsa_uses_dynamic_stack 0
		.amdhsa_enable_private_segment 1
		.amdhsa_system_sgpr_workgroup_id_x 1
		.amdhsa_system_sgpr_workgroup_id_y 0
		.amdhsa_system_sgpr_workgroup_id_z 1
		.amdhsa_system_sgpr_workgroup_info 0
		.amdhsa_system_vgpr_workitem_id 2
		.amdhsa_next_free_vgpr 51
		.amdhsa_next_free_sgpr 56
		.amdhsa_reserve_vcc 1
		.amdhsa_float_round_mode_32 0
		.amdhsa_float_round_mode_16_64 0
		.amdhsa_float_denorm_mode_32 3
		.amdhsa_float_denorm_mode_16_64 3
		.amdhsa_dx10_clamp 1
		.amdhsa_ieee_mode 1
		.amdhsa_fp16_overflow 0
		.amdhsa_workgroup_processor_mode 1
		.amdhsa_memory_ordered 1
		.amdhsa_forward_progress 0
		.amdhsa_shared_vgpr_count 0
		.amdhsa_exception_fp_ieee_invalid_op 0
		.amdhsa_exception_fp_denorm_src 0
		.amdhsa_exception_fp_ieee_div_zero 0
		.amdhsa_exception_fp_ieee_overflow 0
		.amdhsa_exception_fp_ieee_underflow 0
		.amdhsa_exception_fp_ieee_inexact 0
		.amdhsa_exception_int_div_zero 0
	.end_amdhsa_kernel
	.section	.text._ZN9rocsolver6v33100L11stedcx_sortIffPfEEviPT0_lT1_iiliPiS6_,"axG",@progbits,_ZN9rocsolver6v33100L11stedcx_sortIffPfEEviPT0_lT1_iiliPiS6_,comdat
.Lfunc_end15:
	.size	_ZN9rocsolver6v33100L11stedcx_sortIffPfEEviPT0_lT1_iiliPiS6_, .Lfunc_end15-_ZN9rocsolver6v33100L11stedcx_sortIffPfEEviPT0_lT1_iiliPiS6_
                                        ; -- End function
	.section	.AMDGPU.csdata,"",@progbits
; Kernel info:
; codeLenInByte = 2720
; NumSgprs: 58
; NumVgprs: 51
; ScratchSize: 64
; MemoryBound: 0
; FloatMode: 240
; IeeeMode: 1
; LDSByteSize: 0 bytes/workgroup (compile time only)
; SGPRBlocks: 7
; VGPRBlocks: 6
; NumSGPRsForWavesPerEU: 58
; NumVGPRsForWavesPerEU: 51
; Occupancy: 16
; WaveLimiterHint : 1
; COMPUTE_PGM_RSRC2:SCRATCH_EN: 1
; COMPUTE_PGM_RSRC2:USER_SGPR: 14
; COMPUTE_PGM_RSRC2:TRAP_HANDLER: 0
; COMPUTE_PGM_RSRC2:TGID_X_EN: 1
; COMPUTE_PGM_RSRC2:TGID_Y_EN: 0
; COMPUTE_PGM_RSRC2:TGID_Z_EN: 1
; COMPUTE_PGM_RSRC2:TIDIG_COMP_CNT: 2
	.section	.text._ZN9rocsolver6v33100L16reset_batch_infoIdiiPdEEvT2_lT0_T1_,"axG",@progbits,_ZN9rocsolver6v33100L16reset_batch_infoIdiiPdEEvT2_lT0_T1_,comdat
	.globl	_ZN9rocsolver6v33100L16reset_batch_infoIdiiPdEEvT2_lT0_T1_ ; -- Begin function _ZN9rocsolver6v33100L16reset_batch_infoIdiiPdEEvT2_lT0_T1_
	.p2align	8
	.type	_ZN9rocsolver6v33100L16reset_batch_infoIdiiPdEEvT2_lT0_T1_,@function
_ZN9rocsolver6v33100L16reset_batch_infoIdiiPdEEvT2_lT0_T1_: ; @_ZN9rocsolver6v33100L16reset_batch_infoIdiiPdEEvT2_lT0_T1_
; %bb.0:
	s_clause 0x1
	s_load_b32 s4, s[0:1], 0x24
	s_load_b64 s[2:3], s[0:1], 0x10
	s_waitcnt lgkmcnt(0)
	s_and_b32 s4, s4, 0xffff
	s_delay_alu instid0(SALU_CYCLE_1) | instskip(NEXT) | instid1(VALU_DEP_1)
	v_mad_u64_u32 v[1:2], null, s14, s4, v[0:1]
	v_cmp_gt_i32_e32 vcc_lo, s2, v1
	s_and_saveexec_b32 s2, vcc_lo
	s_cbranch_execz .LBB16_2
; %bb.1:
	v_cvt_f64_i32_e32 v[3:4], s3
	s_load_b128 s[4:7], s[0:1], 0x0
	v_ashrrev_i32_e32 v2, 31, v1
	s_ashr_i32 s0, s15, 31
	s_delay_alu instid0(VALU_DEP_1)
	v_lshlrev_b64 v[0:1], 3, v[1:2]
	s_waitcnt lgkmcnt(0)
	s_mul_i32 s1, s15, s7
	s_mul_hi_u32 s2, s15, s6
	s_mul_i32 s0, s0, s6
	s_add_i32 s1, s2, s1
	s_delay_alu instid0(SALU_CYCLE_1) | instskip(SKIP_1) | instid1(SALU_CYCLE_1)
	s_add_i32 s1, s1, s0
	s_mul_i32 s0, s15, s6
	s_lshl_b64 s[0:1], s[0:1], 3
	s_delay_alu instid0(SALU_CYCLE_1)
	s_add_u32 s0, s4, s0
	s_addc_u32 s1, s5, s1
	v_add_co_u32 v0, vcc_lo, s0, v0
	v_add_co_ci_u32_e32 v1, vcc_lo, s1, v1, vcc_lo
	global_store_b64 v[0:1], v[3:4], off
.LBB16_2:
	s_nop 0
	s_sendmsg sendmsg(MSG_DEALLOC_VGPRS)
	s_endpgm
	.section	.rodata,"a",@progbits
	.p2align	6, 0x0
	.amdhsa_kernel _ZN9rocsolver6v33100L16reset_batch_infoIdiiPdEEvT2_lT0_T1_
		.amdhsa_group_segment_fixed_size 0
		.amdhsa_private_segment_fixed_size 0
		.amdhsa_kernarg_size 280
		.amdhsa_user_sgpr_count 14
		.amdhsa_user_sgpr_dispatch_ptr 0
		.amdhsa_user_sgpr_queue_ptr 0
		.amdhsa_user_sgpr_kernarg_segment_ptr 1
		.amdhsa_user_sgpr_dispatch_id 0
		.amdhsa_user_sgpr_private_segment_size 0
		.amdhsa_wavefront_size32 1
		.amdhsa_uses_dynamic_stack 0
		.amdhsa_enable_private_segment 0
		.amdhsa_system_sgpr_workgroup_id_x 1
		.amdhsa_system_sgpr_workgroup_id_y 1
		.amdhsa_system_sgpr_workgroup_id_z 0
		.amdhsa_system_sgpr_workgroup_info 0
		.amdhsa_system_vgpr_workitem_id 0
		.amdhsa_next_free_vgpr 5
		.amdhsa_next_free_sgpr 16
		.amdhsa_reserve_vcc 1
		.amdhsa_float_round_mode_32 0
		.amdhsa_float_round_mode_16_64 0
		.amdhsa_float_denorm_mode_32 3
		.amdhsa_float_denorm_mode_16_64 3
		.amdhsa_dx10_clamp 1
		.amdhsa_ieee_mode 1
		.amdhsa_fp16_overflow 0
		.amdhsa_workgroup_processor_mode 1
		.amdhsa_memory_ordered 1
		.amdhsa_forward_progress 0
		.amdhsa_shared_vgpr_count 0
		.amdhsa_exception_fp_ieee_invalid_op 0
		.amdhsa_exception_fp_denorm_src 0
		.amdhsa_exception_fp_ieee_div_zero 0
		.amdhsa_exception_fp_ieee_overflow 0
		.amdhsa_exception_fp_ieee_underflow 0
		.amdhsa_exception_fp_ieee_inexact 0
		.amdhsa_exception_int_div_zero 0
	.end_amdhsa_kernel
	.section	.text._ZN9rocsolver6v33100L16reset_batch_infoIdiiPdEEvT2_lT0_T1_,"axG",@progbits,_ZN9rocsolver6v33100L16reset_batch_infoIdiiPdEEvT2_lT0_T1_,comdat
.Lfunc_end16:
	.size	_ZN9rocsolver6v33100L16reset_batch_infoIdiiPdEEvT2_lT0_T1_, .Lfunc_end16-_ZN9rocsolver6v33100L16reset_batch_infoIdiiPdEEvT2_lT0_T1_
                                        ; -- End function
	.section	.AMDGPU.csdata,"",@progbits
; Kernel info:
; codeLenInByte = 168
; NumSgprs: 18
; NumVgprs: 5
; ScratchSize: 0
; MemoryBound: 0
; FloatMode: 240
; IeeeMode: 1
; LDSByteSize: 0 bytes/workgroup (compile time only)
; SGPRBlocks: 2
; VGPRBlocks: 0
; NumSGPRsForWavesPerEU: 18
; NumVGPRsForWavesPerEU: 5
; Occupancy: 16
; WaveLimiterHint : 0
; COMPUTE_PGM_RSRC2:SCRATCH_EN: 0
; COMPUTE_PGM_RSRC2:USER_SGPR: 14
; COMPUTE_PGM_RSRC2:TRAP_HANDLER: 0
; COMPUTE_PGM_RSRC2:TGID_X_EN: 1
; COMPUTE_PGM_RSRC2:TGID_Y_EN: 1
; COMPUTE_PGM_RSRC2:TGID_Z_EN: 0
; COMPUTE_PGM_RSRC2:TIDIG_COMP_CNT: 0
	.section	.text._ZN9rocsolver6v33100L19stedcx_case1_kernelIdEEv15rocblas_erange_T_S3_PS3_lPiS4_l,"axG",@progbits,_ZN9rocsolver6v33100L19stedcx_case1_kernelIdEEv15rocblas_erange_T_S3_PS3_lPiS4_l,comdat
	.globl	_ZN9rocsolver6v33100L19stedcx_case1_kernelIdEEv15rocblas_erange_T_S3_PS3_lPiS4_l ; -- Begin function _ZN9rocsolver6v33100L19stedcx_case1_kernelIdEEv15rocblas_erange_T_S3_PS3_lPiS4_l
	.p2align	8
	.type	_ZN9rocsolver6v33100L19stedcx_case1_kernelIdEEv15rocblas_erange_T_S3_PS3_lPiS4_l,@function
_ZN9rocsolver6v33100L19stedcx_case1_kernelIdEEv15rocblas_erange_T_S3_PS3_lPiS4_l: ; @_ZN9rocsolver6v33100L19stedcx_case1_kernelIdEEv15rocblas_erange_T_S3_PS3_lPiS4_l
; %bb.0:
	s_clause 0x1
	s_load_b256 s[4:11], s[0:1], 0x8
	s_load_b32 s16, s[0:1], 0x0
	s_ashr_i32 s3, s15, 31
	s_mov_b32 s2, s15
	s_waitcnt lgkmcnt(0)
	s_mul_i32 s11, s15, s11
	s_mul_hi_u32 s12, s15, s10
	s_mul_i32 s13, s3, s10
	s_add_i32 s11, s12, s11
	s_mul_i32 s10, s15, s10
	s_add_i32 s11, s11, s13
	s_delay_alu instid0(SALU_CYCLE_1) | instskip(NEXT) | instid1(SALU_CYCLE_1)
	s_lshl_b64 s[10:11], s[10:11], 3
	s_add_u32 s14, s8, s10
	s_addc_u32 s15, s9, s11
	s_clause 0x1
	s_load_b128 s[8:11], s[0:1], 0x28
	s_load_b64 s[12:13], s[0:1], 0x38
	s_load_b64 s[0:1], s[14:15], 0x0
	s_cmpk_lg_i32 s16, 0xe8
	s_cselect_b32 s14, -1, 0
	s_delay_alu instid0(SALU_CYCLE_1)
	s_and_b32 vcc_lo, exec_lo, s14
	s_cbranch_vccnz .LBB17_2
; %bb.1:
	s_waitcnt lgkmcnt(0)
	v_cmp_nle_f64_e64 s4, s[0:1], s[4:5]
	v_cmp_ngt_f64_e64 s5, s[0:1], s[6:7]
	s_delay_alu instid0(VALU_DEP_1)
	s_and_b32 s14, s4, s5
	s_mov_b32 s4, -1
	s_and_not1_b32 vcc_lo, exec_lo, s14
	s_cbranch_vccz .LBB17_3
	s_branch .LBB17_4
.LBB17_2:
	s_mov_b32 s4, 0
	s_and_not1_b32 vcc_lo, exec_lo, s14
	s_cbranch_vccnz .LBB17_4
.LBB17_3:
	s_waitcnt lgkmcnt(0)
	s_mul_i32 s4, s2, s13
	s_mul_hi_u32 s5, s2, s12
	s_mul_i32 s6, s3, s12
	s_add_i32 s5, s5, s4
	s_mul_i32 s4, s2, s12
	s_add_i32 s5, s5, s6
	v_dual_mov_b32 v2, 0 :: v_dual_mov_b32 v3, 1
	s_lshl_b64 s[4:5], s[4:5], 3
	v_dual_mov_b32 v0, s0 :: v_dual_mov_b32 v1, s1
	s_add_u32 s6, s10, s4
	s_addc_u32 s7, s11, s5
	s_lshl_b64 s[4:5], s[2:3], 2
	s_delay_alu instid0(SALU_CYCLE_1)
	s_add_u32 s0, s8, s4
	s_addc_u32 s1, s9, s5
	s_mov_b32 s4, 0
	s_clause 0x1
	global_store_b32 v2, v3, s[0:1]
	global_store_b64 v2, v[0:1], s[6:7]
.LBB17_4:
	s_and_not1_b32 vcc_lo, exec_lo, s4
	s_cbranch_vccnz .LBB17_6
; %bb.5:
	s_waitcnt lgkmcnt(0)
	s_lshl_b64 s[0:1], s[2:3], 2
	v_mov_b32_e32 v0, 0
	s_add_u32 s0, s8, s0
	s_addc_u32 s1, s9, s1
	global_store_b32 v0, v0, s[0:1]
.LBB17_6:
	s_nop 0
	s_sendmsg sendmsg(MSG_DEALLOC_VGPRS)
	s_endpgm
	.section	.rodata,"a",@progbits
	.p2align	6, 0x0
	.amdhsa_kernel _ZN9rocsolver6v33100L19stedcx_case1_kernelIdEEv15rocblas_erange_T_S3_PS3_lPiS4_l
		.amdhsa_group_segment_fixed_size 0
		.amdhsa_private_segment_fixed_size 0
		.amdhsa_kernarg_size 64
		.amdhsa_user_sgpr_count 15
		.amdhsa_user_sgpr_dispatch_ptr 0
		.amdhsa_user_sgpr_queue_ptr 0
		.amdhsa_user_sgpr_kernarg_segment_ptr 1
		.amdhsa_user_sgpr_dispatch_id 0
		.amdhsa_user_sgpr_private_segment_size 0
		.amdhsa_wavefront_size32 1
		.amdhsa_uses_dynamic_stack 0
		.amdhsa_enable_private_segment 0
		.amdhsa_system_sgpr_workgroup_id_x 1
		.amdhsa_system_sgpr_workgroup_id_y 0
		.amdhsa_system_sgpr_workgroup_id_z 0
		.amdhsa_system_sgpr_workgroup_info 0
		.amdhsa_system_vgpr_workitem_id 0
		.amdhsa_next_free_vgpr 4
		.amdhsa_next_free_sgpr 17
		.amdhsa_reserve_vcc 1
		.amdhsa_float_round_mode_32 0
		.amdhsa_float_round_mode_16_64 0
		.amdhsa_float_denorm_mode_32 3
		.amdhsa_float_denorm_mode_16_64 3
		.amdhsa_dx10_clamp 1
		.amdhsa_ieee_mode 1
		.amdhsa_fp16_overflow 0
		.amdhsa_workgroup_processor_mode 1
		.amdhsa_memory_ordered 1
		.amdhsa_forward_progress 0
		.amdhsa_shared_vgpr_count 0
		.amdhsa_exception_fp_ieee_invalid_op 0
		.amdhsa_exception_fp_denorm_src 0
		.amdhsa_exception_fp_ieee_div_zero 0
		.amdhsa_exception_fp_ieee_overflow 0
		.amdhsa_exception_fp_ieee_underflow 0
		.amdhsa_exception_fp_ieee_inexact 0
		.amdhsa_exception_int_div_zero 0
	.end_amdhsa_kernel
	.section	.text._ZN9rocsolver6v33100L19stedcx_case1_kernelIdEEv15rocblas_erange_T_S3_PS3_lPiS4_l,"axG",@progbits,_ZN9rocsolver6v33100L19stedcx_case1_kernelIdEEv15rocblas_erange_T_S3_PS3_lPiS4_l,comdat
.Lfunc_end17:
	.size	_ZN9rocsolver6v33100L19stedcx_case1_kernelIdEEv15rocblas_erange_T_S3_PS3_lPiS4_l, .Lfunc_end17-_ZN9rocsolver6v33100L19stedcx_case1_kernelIdEEv15rocblas_erange_T_S3_PS3_lPiS4_l
                                        ; -- End function
	.section	.AMDGPU.csdata,"",@progbits
; Kernel info:
; codeLenInByte = 320
; NumSgprs: 19
; NumVgprs: 4
; ScratchSize: 0
; MemoryBound: 0
; FloatMode: 240
; IeeeMode: 1
; LDSByteSize: 0 bytes/workgroup (compile time only)
; SGPRBlocks: 2
; VGPRBlocks: 0
; NumSGPRsForWavesPerEU: 19
; NumVGPRsForWavesPerEU: 4
; Occupancy: 16
; WaveLimiterHint : 0
; COMPUTE_PGM_RSRC2:SCRATCH_EN: 0
; COMPUTE_PGM_RSRC2:USER_SGPR: 15
; COMPUTE_PGM_RSRC2:TRAP_HANDLER: 0
; COMPUTE_PGM_RSRC2:TGID_X_EN: 1
; COMPUTE_PGM_RSRC2:TGID_Y_EN: 0
; COMPUTE_PGM_RSRC2:TGID_Z_EN: 0
; COMPUTE_PGM_RSRC2:TIDIG_COMP_CNT: 0
	.section	.text._ZN9rocsolver6v33100L10init_identIdPdEEviiT0_iil,"axG",@progbits,_ZN9rocsolver6v33100L10init_identIdPdEEviiT0_iil,comdat
	.globl	_ZN9rocsolver6v33100L10init_identIdPdEEviiT0_iil ; -- Begin function _ZN9rocsolver6v33100L10init_identIdPdEEviiT0_iil
	.p2align	8
	.type	_ZN9rocsolver6v33100L10init_identIdPdEEviiT0_iil,@function
_ZN9rocsolver6v33100L10init_identIdPdEEviiT0_iil: ; @_ZN9rocsolver6v33100L10init_identIdPdEEviiT0_iil
; %bb.0:
	s_clause 0x1
	s_load_b32 s4, s[0:1], 0x2c
	s_load_b64 s[2:3], s[0:1], 0x0
	v_and_b32_e32 v1, 0x3ff, v0
	v_bfe_u32 v0, v0, 10, 10
	s_waitcnt lgkmcnt(0)
	s_lshr_b32 s5, s4, 16
	s_and_b32 s4, s4, 0xffff
	s_delay_alu instid0(SALU_CYCLE_1) | instskip(SKIP_1) | instid1(VALU_DEP_2)
	v_mad_u64_u32 v[4:5], null, s13, s4, v[1:2]
	v_mad_u64_u32 v[2:3], null, s14, s5, v[0:1]
	v_cmp_gt_u32_e32 vcc_lo, s2, v4
	s_delay_alu instid0(VALU_DEP_2) | instskip(NEXT) | instid1(VALU_DEP_1)
	v_cmp_gt_u32_e64 s2, s3, v2
	s_and_b32 s2, vcc_lo, s2
	s_delay_alu instid0(SALU_CYCLE_1)
	s_and_saveexec_b32 s3, s2
	s_cbranch_execz .LBB18_6
; %bb.1:
	s_load_b64 s[2:3], s[0:1], 0x10
	s_mov_b32 s6, exec_lo
                                        ; implicit-def: $sgpr4_sgpr5
                                        ; implicit-def: $vgpr0
	v_cmpx_ne_u32_e64 v4, v2
	s_xor_b32 s6, exec_lo, s6
	s_cbranch_execz .LBB18_3
; %bb.2:
	s_waitcnt lgkmcnt(0)
	v_mad_u64_u32 v[0:1], null, v2, s3, v[4:5]
	s_mov_b64 s[4:5], 0
                                        ; implicit-def: $vgpr4_vgpr5
.LBB18_3:
	s_or_saveexec_b32 s6, s6
	v_dual_mov_b32 v2, s4 :: v_dual_mov_b32 v3, s5
	s_xor_b32 exec_lo, exec_lo, s6
	s_cbranch_execz .LBB18_5
; %bb.4:
	s_waitcnt lgkmcnt(0)
	v_mad_u64_u32 v[0:1], null, v4, s3, v[4:5]
	v_mov_b32_e32 v2, 0
	v_mov_b32_e32 v3, 0x3ff00000
.LBB18_5:
	s_or_b32 exec_lo, exec_lo, s6
	s_clause 0x1
	s_load_b64 s[4:5], s[0:1], 0x18
	s_load_b64 s[0:1], s[0:1], 0x8
	v_mov_b32_e32 v1, 0
	s_delay_alu instid0(VALU_DEP_1)
	v_lshlrev_b64 v[0:1], 3, v[0:1]
	s_waitcnt lgkmcnt(0)
	s_mul_i32 s3, s15, s5
	s_mul_hi_u32 s5, s15, s4
	s_mul_i32 s4, s15, s4
	s_add_i32 s5, s5, s3
	s_ashr_i32 s3, s2, 31
	s_lshl_b64 s[4:5], s[4:5], 3
	s_delay_alu instid0(SALU_CYCLE_1) | instskip(SKIP_2) | instid1(SALU_CYCLE_1)
	s_add_u32 s4, s0, s4
	s_addc_u32 s5, s1, s5
	s_lshl_b64 s[0:1], s[2:3], 3
	s_add_u32 s0, s4, s0
	s_addc_u32 s1, s5, s1
	v_add_co_u32 v0, vcc_lo, s0, v0
	v_add_co_ci_u32_e32 v1, vcc_lo, s1, v1, vcc_lo
	global_store_b64 v[0:1], v[2:3], off
.LBB18_6:
	s_nop 0
	s_sendmsg sendmsg(MSG_DEALLOC_VGPRS)
	s_endpgm
	.section	.rodata,"a",@progbits
	.p2align	6, 0x0
	.amdhsa_kernel _ZN9rocsolver6v33100L10init_identIdPdEEviiT0_iil
		.amdhsa_group_segment_fixed_size 0
		.amdhsa_private_segment_fixed_size 0
		.amdhsa_kernarg_size 288
		.amdhsa_user_sgpr_count 13
		.amdhsa_user_sgpr_dispatch_ptr 0
		.amdhsa_user_sgpr_queue_ptr 0
		.amdhsa_user_sgpr_kernarg_segment_ptr 1
		.amdhsa_user_sgpr_dispatch_id 0
		.amdhsa_user_sgpr_private_segment_size 0
		.amdhsa_wavefront_size32 1
		.amdhsa_uses_dynamic_stack 0
		.amdhsa_enable_private_segment 0
		.amdhsa_system_sgpr_workgroup_id_x 1
		.amdhsa_system_sgpr_workgroup_id_y 1
		.amdhsa_system_sgpr_workgroup_id_z 1
		.amdhsa_system_sgpr_workgroup_info 0
		.amdhsa_system_vgpr_workitem_id 1
		.amdhsa_next_free_vgpr 6
		.amdhsa_next_free_sgpr 16
		.amdhsa_reserve_vcc 1
		.amdhsa_float_round_mode_32 0
		.amdhsa_float_round_mode_16_64 0
		.amdhsa_float_denorm_mode_32 3
		.amdhsa_float_denorm_mode_16_64 3
		.amdhsa_dx10_clamp 1
		.amdhsa_ieee_mode 1
		.amdhsa_fp16_overflow 0
		.amdhsa_workgroup_processor_mode 1
		.amdhsa_memory_ordered 1
		.amdhsa_forward_progress 0
		.amdhsa_shared_vgpr_count 0
		.amdhsa_exception_fp_ieee_invalid_op 0
		.amdhsa_exception_fp_denorm_src 0
		.amdhsa_exception_fp_ieee_div_zero 0
		.amdhsa_exception_fp_ieee_overflow 0
		.amdhsa_exception_fp_ieee_underflow 0
		.amdhsa_exception_fp_ieee_inexact 0
		.amdhsa_exception_int_div_zero 0
	.end_amdhsa_kernel
	.section	.text._ZN9rocsolver6v33100L10init_identIdPdEEviiT0_iil,"axG",@progbits,_ZN9rocsolver6v33100L10init_identIdPdEEviiT0_iil,comdat
.Lfunc_end18:
	.size	_ZN9rocsolver6v33100L10init_identIdPdEEviiT0_iil, .Lfunc_end18-_ZN9rocsolver6v33100L10init_identIdPdEEviiT0_iil
                                        ; -- End function
	.section	.AMDGPU.csdata,"",@progbits
; Kernel info:
; codeLenInByte = 316
; NumSgprs: 18
; NumVgprs: 6
; ScratchSize: 0
; MemoryBound: 0
; FloatMode: 240
; IeeeMode: 1
; LDSByteSize: 0 bytes/workgroup (compile time only)
; SGPRBlocks: 2
; VGPRBlocks: 0
; NumSGPRsForWavesPerEU: 18
; NumVGPRsForWavesPerEU: 6
; Occupancy: 16
; WaveLimiterHint : 0
; COMPUTE_PGM_RSRC2:SCRATCH_EN: 0
; COMPUTE_PGM_RSRC2:USER_SGPR: 13
; COMPUTE_PGM_RSRC2:TRAP_HANDLER: 0
; COMPUTE_PGM_RSRC2:TGID_X_EN: 1
; COMPUTE_PGM_RSRC2:TGID_Y_EN: 1
; COMPUTE_PGM_RSRC2:TGID_Z_EN: 1
; COMPUTE_PGM_RSRC2:TIDIG_COMP_CNT: 1
	.section	.text._ZN9rocsolver6v33100L19stedcx_split_kernelIdEEv15rocblas_erange_iT_S3_iiPS3_lS4_lS4_lPiS4_S3_S3_,"axG",@progbits,_ZN9rocsolver6v33100L19stedcx_split_kernelIdEEv15rocblas_erange_iT_S3_iiPS3_lS4_lS4_lPiS4_S3_S3_,comdat
	.globl	_ZN9rocsolver6v33100L19stedcx_split_kernelIdEEv15rocblas_erange_iT_S3_iiPS3_lS4_lS4_lPiS4_S3_S3_ ; -- Begin function _ZN9rocsolver6v33100L19stedcx_split_kernelIdEEv15rocblas_erange_iT_S3_iiPS3_lS4_lS4_lPiS4_S3_S3_
	.p2align	8
	.type	_ZN9rocsolver6v33100L19stedcx_split_kernelIdEEv15rocblas_erange_iT_S3_iiPS3_lS4_lS4_lPiS4_S3_S3_,@function
_ZN9rocsolver6v33100L19stedcx_split_kernelIdEEv15rocblas_erange_iT_S3_iiPS3_lS4_lS4_lPiS4_S3_S3_: ; @_ZN9rocsolver6v33100L19stedcx_split_kernelIdEEv15rocblas_erange_iT_S3_iiPS3_lS4_lS4_lPiS4_S3_S3_
; %bb.0:
	s_clause 0x1
	s_load_b512 s[16:31], s[0:1], 0x20
	s_load_b64 s[12:13], s[0:1], 0x0
	s_ashr_i32 s49, s15, 31
	v_lshlrev_b32_e32 v17, 3, v0
	s_waitcnt lgkmcnt(0)
	s_mul_i32 s2, s15, s19
	s_mul_hi_u32 s3, s15, s18
	s_mul_i32 s4, s49, s18
	s_add_i32 s2, s3, s2
	s_ashr_i32 s19, s13, 31
	s_lshl_b32 s14, s13, 2
	s_add_i32 s45, s2, s4
	v_cmp_gt_i32_e32 vcc_lo, s13, v0
	s_cmpk_eq_i32 s12, 0xe9
	s_mul_i32 s44, s15, s18
	s_cselect_b32 s48, -1, 0
	s_mov_b32 s18, s13
	s_and_b32 s2, s48, vcc_lo
	s_delay_alu instid0(SALU_CYCLE_1)
	s_and_saveexec_b32 s3, s2
	s_cbranch_execz .LBB19_3
; %bb.1:
	s_load_b32 s2, s[0:1], 0x7c
	s_add_i32 s4, s14, 2
	s_lshl_b64 s[8:9], s[18:19], 3
	s_mul_i32 s4, s15, s4
	v_mov_b32_e32 v5, v0
	s_ashr_i32 s5, s4, 31
	s_delay_alu instid0(SALU_CYCLE_1)
	s_lshl_b64 s[4:5], s[4:5], 3
	s_waitcnt lgkmcnt(0)
	s_and_b32 s6, s2, 0xffff
	s_add_u32 s2, s8, s4
	s_addc_u32 s4, s9, s5
	s_add_u32 s2, s30, s2
	s_addc_u32 s8, s31, s4
	v_add_co_u32 v3, s2, s2, v17
	s_lshl_b64 s[4:5], s[44:45], 3
	s_lshl_b32 s7, s6, 3
	v_add_co_ci_u32_e64 v4, null, s8, 0, s2
	s_add_u32 s2, s16, s4
	s_addc_u32 s4, s17, s5
	v_add_co_u32 v1, s2, s2, v17
	v_add_co_u32 v3, vcc_lo, v3, 16
	v_add_co_ci_u32_e64 v2, null, s4, 0, s2
	v_add_co_ci_u32_e32 v4, vcc_lo, 0, v4, vcc_lo
	s_mov_b32 s8, 0
	s_mov_b64 s[4:5], 0
	.p2align	6
.LBB19_2:                               ; =>This Inner Loop Header: Depth=1
	s_delay_alu instid0(SALU_CYCLE_1)
	v_add_co_u32 v6, vcc_lo, v1, s4
	v_add_co_ci_u32_e32 v7, vcc_lo, s5, v2, vcc_lo
	v_add_nc_u32_e32 v5, s6, v5
	v_add_co_u32 v8, vcc_lo, v3, s4
	global_load_b64 v[6:7], v[6:7], off
	v_add_co_ci_u32_e32 v9, vcc_lo, s5, v4, vcc_lo
	v_cmp_le_i32_e64 s2, s13, v5
	s_add_u32 s4, s4, s7
	s_addc_u32 s5, s5, 0
	s_delay_alu instid0(VALU_DEP_1)
	s_or_b32 s8, s2, s8
	s_waitcnt vmcnt(0)
	global_store_b64 v[8:9], v[6:7], off
	s_and_not1_b32 exec_lo, exec_lo, s8
	s_cbranch_execnz .LBB19_2
.LBB19_3:
	s_or_b32 exec_lo, exec_lo, s3
	s_add_i32 s33, s13, -1
	v_dual_mov_b32 v1, 0 :: v_dual_lshlrev_b32 v2, 2, v0
	s_ashr_i32 s2, s33, 31
	s_delay_alu instid0(SALU_CYCLE_1) | instskip(NEXT) | instid1(SALU_CYCLE_1)
	s_lshr_b32 s2, s2, 24
	s_add_i32 s2, s33, s2
	s_delay_alu instid0(SALU_CYCLE_1) | instskip(SKIP_2) | instid1(SALU_CYCLE_1)
	s_and_b32 s3, s2, 0xffffff00
	s_ashr_i32 s2, s2, 8
	s_sub_i32 s3, s33, s3
	v_cmp_gt_i32_e32 vcc_lo, s3, v0
	v_add_co_ci_u32_e64 v19, null, s2, 0, vcc_lo
	v_cmp_eq_u32_e64 s2, 0, v0
	v_cmp_ne_u32_e32 vcc_lo, 0, v0
	ds_store_b32 v2, v19 offset:2048
	s_waitcnt lgkmcnt(0)
	s_waitcnt_vscnt null, 0x0
	s_barrier
	buffer_gl0_inv
	s_and_saveexec_b32 s4, vcc_lo
	s_cbranch_execz .LBB19_13
; %bb.4:
	v_mov_b32_e32 v1, 0
	v_mov_b32_e32 v3, 0
	s_mov_b32 s6, 0
	s_mov_b32 s5, exec_lo
	v_cmpx_lt_u32_e32 7, v0
	s_cbranch_execz .LBB19_8
; %bb.5:
	v_and_b32_e32 v3, 0xf8, v0
	v_mov_b32_e32 v1, 0
	s_movk_i32 s7, 0x800
	s_mov_b32 s8, 0
	.p2align	6
.LBB19_6:                               ; =>This Inner Loop Header: Depth=1
	v_mov_b32_e32 v8, s7
	s_add_i32 s8, s8, 8
	s_add_i32 s7, s7, 32
	v_cmp_eq_u32_e64 s3, s8, v3
	ds_load_b128 v[4:7], v8
	ds_load_b128 v[8:11], v8 offset:16
	s_or_b32 s6, s3, s6
	s_waitcnt lgkmcnt(1)
	v_add_nc_u32_e32 v1, v4, v1
	s_delay_alu instid0(VALU_DEP_1) | instskip(NEXT) | instid1(VALU_DEP_1)
	v_add_nc_u32_e32 v1, v5, v1
	v_add_nc_u32_e32 v1, v6, v1
	s_delay_alu instid0(VALU_DEP_1) | instskip(SKIP_1) | instid1(VALU_DEP_1)
	v_add_nc_u32_e32 v1, v7, v1
	s_waitcnt lgkmcnt(0)
	v_add_nc_u32_e32 v1, v8, v1
	s_delay_alu instid0(VALU_DEP_1) | instskip(NEXT) | instid1(VALU_DEP_1)
	v_add_nc_u32_e32 v1, v9, v1
	v_add_nc_u32_e32 v1, v10, v1
	s_delay_alu instid0(VALU_DEP_1)
	v_add_nc_u32_e32 v1, v11, v1
	s_and_not1_b32 exec_lo, exec_lo, s6
	s_cbranch_execnz .LBB19_6
; %bb.7:
	s_or_b32 exec_lo, exec_lo, s6
.LBB19_8:
	s_delay_alu instid0(SALU_CYCLE_1) | instskip(SKIP_3) | instid1(VALU_DEP_1)
	s_or_b32 exec_lo, exec_lo, s5
	v_and_b32_e32 v4, 7, v0
	s_mov_b32 s6, 0
	s_mov_b32 s5, exec_lo
	v_cmpx_ne_u32_e32 0, v4
	s_cbranch_execz .LBB19_12
; %bb.9:
	v_lshl_or_b32 v3, v3, 2, 0x800
.LBB19_10:                              ; =>This Inner Loop Header: Depth=1
	ds_load_b32 v5, v3
	v_add_nc_u32_e32 v4, -1, v4
	v_add_nc_u32_e32 v3, 4, v3
	s_delay_alu instid0(VALU_DEP_2) | instskip(NEXT) | instid1(VALU_DEP_1)
	v_cmp_eq_u32_e64 s3, 0, v4
	s_or_b32 s6, s3, s6
	s_waitcnt lgkmcnt(0)
	v_add_nc_u32_e32 v1, v5, v1
	s_and_not1_b32 exec_lo, exec_lo, s6
	s_cbranch_execnz .LBB19_10
; %bb.11:
	s_or_b32 exec_lo, exec_lo, s6
.LBB19_12:
	s_delay_alu instid0(SALU_CYCLE_1)
	s_or_b32 exec_lo, exec_lo, s5
.LBB19_13:
	s_delay_alu instid0(SALU_CYCLE_1)
	s_or_b32 exec_lo, exec_lo, s4
	s_mul_i32 s3, s13, 5
	s_mul_i32 s6, s15, s27
	s_add_i32 s3, s3, 2
	s_mul_hi_u32 s7, s15, s26
	s_mul_i32 s4, s3, s15
	s_mul_i32 s3, s49, s26
	s_ashr_i32 s5, s4, 31
	s_add_i32 s6, s7, s6
	s_lshl_b64 s[34:35], s[4:5], 2
	s_add_i32 s47, s6, s3
	s_load_b128 s[8:11], s[0:1], 0x60
	s_add_u32 s6, s28, s34
	v_or_b32_e32 v18, 0x800, v2
	s_addc_u32 s7, s29, s35
	s_lshl_b64 s[36:37], s[18:19], 2
	v_ashrrev_i32_e32 v2, 31, v1
	s_add_u32 s42, s6, s36
	s_addc_u32 s43, s7, s37
	s_lshl_b32 s38, s13, 1
	s_mul_i32 s46, s15, s26
	s_ashr_i32 s39, s38, 31
	v_lshlrev_b64 v[3:4], 2, v[1:2]
	s_lshl_b64 s[40:41], s[38:39], 2
	s_mov_b32 s26, 0
	s_add_u32 s3, s42, s40
	s_addc_u32 s4, s43, s41
	s_mov_b32 s5, exec_lo
	v_add_co_u32 v20, s3, s3, v3
	s_delay_alu instid0(VALU_DEP_1)
	v_add_co_ci_u32_e64 v21, s3, s4, v4, s3
	v_mov_b32_e32 v3, 0
	v_cmpx_lt_i32_e32 0, v19
	s_cbranch_execz .LBB19_19
; %bb.14:
	s_add_i32 s3, s14, 2
	v_lshlrev_b64 v[3:4], 3, v[1:2]
	s_mul_i32 s50, s15, s3
	s_mul_i32 s3, s22, s49
	s_ashr_i32 s51, s50, 31
	s_mul_hi_u32 s4, s22, s15
	s_lshl_b64 s[50:51], s[50:51], 3
	s_mul_i32 s23, s23, s15
	s_add_u32 s27, s30, s50
	s_addc_u32 s49, s31, s51
	s_add_i32 s4, s4, s3
	v_add_co_u32 v2, s3, v20, 8
	s_delay_alu instid0(VALU_DEP_1) | instskip(SKIP_1) | instid1(VALU_DEP_1)
	v_add_co_ci_u32_e64 v22, s3, 0, v21, s3
	v_add_co_u32 v5, s3, s27, v3
	v_add_co_ci_u32_e64 v6, s3, s49, v4, s3
	s_add_i32 s23, s4, s23
	s_mul_i32 s22, s22, s15
	s_delay_alu instid0(VALU_DEP_2)
	v_add_co_u32 v5, s3, v5, 24
	s_lshl_b64 s[22:23], s[22:23], 3
	v_add_co_ci_u32_e64 v6, s3, 0, v6, s3
	s_add_u32 s3, s20, s22
	s_addc_u32 s4, s21, s23
	v_add_co_u32 v7, s3, s3, v3
	s_lshl_b64 s[20:21], s[44:45], 3
	v_add_co_ci_u32_e64 v8, s3, s4, v4, s3
	s_add_u32 s3, s16, s20
	s_addc_u32 s4, s17, s21
	;; [unrolled: 5-line block ×3, first 2 shown]
	v_add_co_u32 v11, s3, s3, v3
	s_delay_alu instid0(VALU_DEP_1)
	v_add_co_ci_u32_e64 v12, s3, s4, v4, s3
	v_mov_b32_e32 v3, 0
	s_branch .LBB19_16
.LBB19_15:                              ;   in Loop: Header=BB19_16 Depth=1
	s_or_b32 exec_lo, exec_lo, s4
	global_store_b64 v[5:6], v[15:16], off
	global_store_b64 v[11:12], v[13:14], off
	v_add_co_u32 v5, s3, v5, 8
	s_delay_alu instid0(VALU_DEP_1) | instskip(SKIP_4) | instid1(VALU_DEP_1)
	v_add_co_ci_u32_e64 v6, s3, 0, v6, s3
	v_add_co_u32 v7, s3, v7, 8
	v_add_nc_u32_e32 v19, -1, v19
	v_add_co_ci_u32_e64 v8, s3, 0, v8, s3
	v_add_co_u32 v9, s3, v9, 8
	v_add_co_ci_u32_e64 v10, s3, 0, v10, s3
	s_delay_alu instid0(VALU_DEP_4) | instskip(SKIP_3) | instid1(VALU_DEP_4)
	v_cmp_eq_u32_e64 s3, 0, v19
	v_add_co_u32 v11, s4, v11, 8
	v_add_nc_u32_e32 v1, 1, v1
	v_add_co_ci_u32_e64 v12, s4, 0, v12, s4
	s_or_b32 s26, s3, s26
	s_delay_alu instid0(SALU_CYCLE_1)
	s_and_not1_b32 exec_lo, exec_lo, s26
	s_cbranch_execz .LBB19_18
.LBB19_16:                              ; =>This Inner Loop Header: Depth=1
	global_load_b128 v[23:26], v[9:10], off
	global_load_b64 v[13:14], v[7:8], off
	s_mov_b32 s4, exec_lo
	s_waitcnt vmcnt(1)
	v_mul_f64 v[15:16], v[23:24], v[25:26]
	s_waitcnt lgkmcnt(0)
	s_delay_alu instid0(VALU_DEP_1) | instskip(SKIP_2) | instid1(VALU_DEP_2)
	v_mul_f64 v[23:24], |v[15:16]|, s[8:9]
	s_waitcnt vmcnt(0)
	v_mul_f64 v[15:16], v[13:14], v[13:14]
	v_fma_f64 v[23:24], v[23:24], s[8:9], s[10:11]
	s_delay_alu instid0(VALU_DEP_1)
	v_cmpx_gt_f64_e32 v[23:24], v[15:16]
	s_cbranch_execz .LBB19_15
; %bb.17:                               ;   in Loop: Header=BB19_16 Depth=1
	v_ashrrev_i32_e32 v4, 31, v3
	v_mov_b32_e32 v15, 0
	v_mov_b32_e32 v16, 0
	s_delay_alu instid0(VALU_DEP_3) | instskip(SKIP_1) | instid1(VALU_DEP_2)
	v_lshlrev_b64 v[13:14], 2, v[3:4]
	v_add_nc_u32_e32 v3, 1, v3
	v_add_co_u32 v23, s3, v2, v13
	s_delay_alu instid0(VALU_DEP_1)
	v_add_co_ci_u32_e64 v24, s3, v22, v14, s3
	v_dual_mov_b32 v13, v15 :: v_dual_mov_b32 v14, v16
	global_store_b32 v[23:24], v1, off
	s_branch .LBB19_15
.LBB19_18:
	s_or_b32 exec_lo, exec_lo, s26
.LBB19_19:
	s_delay_alu instid0(SALU_CYCLE_1)
	s_or_b32 exec_lo, exec_lo, s5
	v_mov_b32_e32 v1, 1
	ds_store_b32 v18, v3
	s_waitcnt lgkmcnt(0)
	s_waitcnt_vscnt null, 0x0
	s_barrier
	buffer_gl0_inv
	s_and_saveexec_b32 s3, vcc_lo
	s_cbranch_execz .LBB19_29
; %bb.20:
	v_dual_mov_b32 v1, 1 :: v_dual_mov_b32 v2, 0
	s_mov_b32 s4, exec_lo
	v_cmpx_lt_u32_e32 7, v0
	s_cbranch_execz .LBB19_24
; %bb.21:
	v_dual_mov_b32 v1, 1 :: v_dual_and_b32 v2, 0xf8, v0
	s_movk_i32 s20, 0x800
	s_mov_b32 s5, 0
	s_mov_b32 s21, 0
	.p2align	6
.LBB19_22:                              ; =>This Inner Loop Header: Depth=1
	v_mov_b32_e32 v8, s20
	s_add_i32 s21, s21, 8
	s_add_i32 s20, s20, 32
	v_cmp_eq_u32_e32 vcc_lo, s21, v2
	ds_load_b128 v[4:7], v8
	ds_load_b128 v[8:11], v8 offset:16
	s_or_b32 s5, vcc_lo, s5
	s_waitcnt lgkmcnt(1)
	v_add_nc_u32_e32 v1, v4, v1
	s_delay_alu instid0(VALU_DEP_1) | instskip(NEXT) | instid1(VALU_DEP_1)
	v_add_nc_u32_e32 v1, v5, v1
	v_add_nc_u32_e32 v1, v6, v1
	s_delay_alu instid0(VALU_DEP_1) | instskip(SKIP_1) | instid1(VALU_DEP_1)
	v_add_nc_u32_e32 v1, v7, v1
	s_waitcnt lgkmcnt(0)
	v_add_nc_u32_e32 v1, v8, v1
	s_delay_alu instid0(VALU_DEP_1) | instskip(NEXT) | instid1(VALU_DEP_1)
	v_add_nc_u32_e32 v1, v9, v1
	v_add_nc_u32_e32 v1, v10, v1
	s_delay_alu instid0(VALU_DEP_1)
	v_add_nc_u32_e32 v1, v11, v1
	s_and_not1_b32 exec_lo, exec_lo, s5
	s_cbranch_execnz .LBB19_22
; %bb.23:
	s_or_b32 exec_lo, exec_lo, s5
.LBB19_24:
	s_delay_alu instid0(SALU_CYCLE_1) | instskip(SKIP_3) | instid1(VALU_DEP_1)
	s_or_b32 exec_lo, exec_lo, s4
	v_and_b32_e32 v4, 7, v0
	s_mov_b32 s5, 0
	s_mov_b32 s4, exec_lo
	v_cmpx_ne_u32_e32 0, v4
	s_cbranch_execz .LBB19_28
; %bb.25:
	v_lshl_or_b32 v2, v2, 2, 0x800
.LBB19_26:                              ; =>This Inner Loop Header: Depth=1
	ds_load_b32 v5, v2
	v_add_nc_u32_e32 v4, -1, v4
	v_add_nc_u32_e32 v2, 4, v2
	s_delay_alu instid0(VALU_DEP_2)
	v_cmp_eq_u32_e32 vcc_lo, 0, v4
	s_or_b32 s5, vcc_lo, s5
	s_waitcnt lgkmcnt(0)
	v_add_nc_u32_e32 v1, v5, v1
	s_and_not1_b32 exec_lo, exec_lo, s5
	s_cbranch_execnz .LBB19_26
; %bb.27:
	s_or_b32 exec_lo, exec_lo, s5
.LBB19_28:
	s_delay_alu instid0(SALU_CYCLE_1)
	s_or_b32 exec_lo, exec_lo, s4
.LBB19_29:
	s_delay_alu instid0(SALU_CYCLE_1)
	s_or_b32 exec_lo, exec_lo, s3
	s_mov_b32 s5, 0
	s_mov_b32 s4, exec_lo
	v_cmpx_lt_i32_e32 0, v3
	s_cbranch_execz .LBB19_32
; %bb.30:
	v_ashrrev_i32_e32 v2, 31, v1
	v_add_co_u32 v4, vcc_lo, v20, 8
	s_add_u32 s3, s28, s34
	v_add_co_ci_u32_e32 v5, vcc_lo, 0, v21, vcc_lo
	s_delay_alu instid0(VALU_DEP_3) | instskip(SKIP_2) | instid1(VALU_DEP_2)
	v_lshlrev_b64 v[6:7], 2, v[1:2]
	s_addc_u32 s20, s29, s35
	v_mov_b32_e32 v2, v3
	v_add_co_u32 v6, vcc_lo, s3, v6
	s_delay_alu instid0(VALU_DEP_3)
	v_add_co_ci_u32_e32 v7, vcc_lo, s20, v7, vcc_lo
	.p2align	6
.LBB19_31:                              ; =>This Inner Loop Header: Depth=1
	global_load_b32 v8, v[4:5], off
	v_add_nc_u32_e32 v2, -1, v2
	v_add_co_u32 v4, vcc_lo, v4, 4
	v_add_co_ci_u32_e32 v5, vcc_lo, 0, v5, vcc_lo
	s_delay_alu instid0(VALU_DEP_3)
	v_cmp_eq_u32_e32 vcc_lo, 0, v2
	s_or_b32 s5, vcc_lo, s5
	s_waitcnt vmcnt(0)
	v_add_nc_u32_e32 v8, 1, v8
	global_store_b32 v[6:7], v8, off
	v_add_co_u32 v6, s3, v6, 4
	s_delay_alu instid0(VALU_DEP_1)
	v_add_co_ci_u32_e64 v7, s3, 0, v7, s3
	s_and_not1_b32 exec_lo, exec_lo, s5
	s_cbranch_execnz .LBB19_31
.LBB19_32:
	s_or_b32 exec_lo, exec_lo, s4
	v_cmp_eq_u32_e64 s3, 0xff, v0
	s_delay_alu instid0(VALU_DEP_1)
	s_and_saveexec_b32 s4, s3
; %bb.33:
	v_dual_mov_b32 v4, s13 :: v_dual_add_nc_u32 v1, v1, v3
	v_mov_b32_e32 v5, 0
	s_delay_alu instid0(VALU_DEP_2) | instskip(NEXT) | instid1(VALU_DEP_1)
	v_ashrrev_i32_e32 v2, 31, v1
	v_lshlrev_b64 v[2:3], 2, v[1:2]
	s_delay_alu instid0(VALU_DEP_1) | instskip(NEXT) | instid1(VALU_DEP_2)
	v_add_co_u32 v2, vcc_lo, s6, v2
	v_add_co_ci_u32_e32 v3, vcc_lo, s7, v3, vcc_lo
	s_clause 0x2
	global_store_b32 v[2:3], v4, off
	global_store_b32 v5, v5, s[6:7]
	global_store_b32 v5, v1, s[42:43] offset:4
; %bb.34:
	s_or_b32 exec_lo, exec_lo, s4
	v_mov_b32_e32 v1, 0
	v_mov_b32_e32 v2, 0
	v_bfrev_b32_e32 v5, -2
	s_mov_b32 s5, exec_lo
	s_waitcnt_vscnt null, 0x0
	s_barrier
	buffer_gl0_inv
	v_cmpx_gt_i32_e64 s33, v0
	s_cbranch_execz .LBB19_38
; %bb.35:
	s_add_i32 s4, s14, 2
	v_dual_mov_b32 v1, 0 :: v_dual_mov_b32 v6, v0
	s_mul_i32 s6, s15, s4
	v_bfrev_b32_e32 v5, -2
	s_ashr_i32 s7, s6, 31
	v_mov_b32_e32 v2, 0
	s_lshl_b64 s[6:7], s[6:7], 3
	s_delay_alu instid0(SALU_CYCLE_1) | instskip(SKIP_2) | instid1(VALU_DEP_1)
	s_add_u32 s4, s30, s6
	s_addc_u32 s6, s31, s7
	v_add_co_u32 v3, s4, s4, v17
	v_add_co_ci_u32_e64 v4, null, s6, 0, s4
	s_mov_b32 s6, 0
	s_delay_alu instid0(VALU_DEP_2) | instskip(NEXT) | instid1(VALU_DEP_2)
	v_add_co_u32 v3, vcc_lo, v3, 24
	v_add_co_ci_u32_e32 v4, vcc_lo, 0, v4, vcc_lo
	.p2align	6
.LBB19_36:                              ; =>This Inner Loop Header: Depth=1
	global_load_b64 v[7:8], v[3:4], off
	v_cmp_eq_u32_e32 vcc_lo, 0x7fffffff, v5
	v_add_co_u32 v3, s4, 0x800, v3
	s_delay_alu instid0(VALU_DEP_1) | instskip(SKIP_2) | instid1(VALU_DEP_1)
	v_add_co_ci_u32_e64 v4, s4, 0, v4, s4
	s_waitcnt vmcnt(0)
	v_cmp_lt_f64_e64 s7, v[1:2], |v[7:8]|
	s_or_b32 vcc_lo, s7, vcc_lo
	v_and_b32_e32 v8, 0x7fffffff, v8
	v_add_nc_u32_e32 v9, 1, v6
	v_dual_cndmask_b32 v1, v1, v7 :: v_dual_add_nc_u32 v6, 0x100, v6
	s_delay_alu instid0(VALU_DEP_2) | instskip(NEXT) | instid1(VALU_DEP_2)
	v_dual_cndmask_b32 v2, v2, v8 :: v_dual_cndmask_b32 v5, v5, v9
	v_cmp_le_i32_e64 s4, s33, v6
	s_delay_alu instid0(VALU_DEP_1) | instskip(NEXT) | instid1(SALU_CYCLE_1)
	s_or_b32 s6, s4, s6
	s_and_not1_b32 exec_lo, exec_lo, s6
	s_cbranch_execnz .LBB19_36
; %bb.37:
	s_or_b32 exec_lo, exec_lo, s6
.LBB19_38:
	s_delay_alu instid0(SALU_CYCLE_1)
	s_or_b32 exec_lo, exec_lo, s5
	s_cmp_lt_i32 s13, 3
	ds_store_b64 v17, v[1:2]
	ds_store_b32 v18, v5
	s_waitcnt lgkmcnt(0)
	s_barrier
	buffer_gl0_inv
	s_cbranch_scc1 .LBB19_75
; %bb.39:
	s_mov_b32 s5, exec_lo
	v_cmpx_gt_u32_e32 0x80, v0
	s_cbranch_execz .LBB19_45
; %bb.40:
	ds_load_b64 v[3:4], v17 offset:1024
	ds_load_b32 v6, v18 offset:512
	s_mov_b32 s7, exec_lo
	s_waitcnt lgkmcnt(1)
	v_cmp_lt_f64_e64 s6, v[1:2], v[3:4]
	v_cmpx_nlt_f64_e32 v[1:2], v[3:4]
	s_cbranch_execz .LBB19_42
; %bb.41:
	v_cmp_eq_f64_e32 vcc_lo, v[1:2], v[3:4]
	s_waitcnt lgkmcnt(0)
	v_cmp_gt_i32_e64 s4, v5, v6
	s_delay_alu instid0(VALU_DEP_4) | instskip(NEXT) | instid1(VALU_DEP_1)
	s_and_not1_b32 s6, s6, exec_lo
	s_and_b32 s4, vcc_lo, s4
	s_delay_alu instid0(SALU_CYCLE_1) | instskip(NEXT) | instid1(SALU_CYCLE_1)
	s_and_b32 s4, s4, exec_lo
	s_or_b32 s6, s6, s4
.LBB19_42:
	s_or_b32 exec_lo, exec_lo, s7
	s_delay_alu instid0(VALU_DEP_2)
	s_and_saveexec_b32 s4, s6
	s_cbranch_execz .LBB19_44
; %bb.43:
	v_mov_b32_e32 v1, v3
	s_waitcnt lgkmcnt(0)
	v_dual_mov_b32 v5, v6 :: v_dual_mov_b32 v2, v4
	ds_store_b64 v17, v[3:4]
	ds_store_b32 v18, v6
.LBB19_44:
	s_or_b32 exec_lo, exec_lo, s4
.LBB19_45:
	s_delay_alu instid0(SALU_CYCLE_1) | instskip(NEXT) | instid1(SALU_CYCLE_1)
	s_or_b32 exec_lo, exec_lo, s5
	s_mov_b32 s5, exec_lo
	s_waitcnt lgkmcnt(0)
	s_barrier
	buffer_gl0_inv
	v_cmpx_gt_u32_e32 64, v0
	s_cbranch_execz .LBB19_51
; %bb.46:
	ds_load_b64 v[3:4], v17 offset:512
	ds_load_b32 v6, v18 offset:256
	s_mov_b32 s7, exec_lo
	s_waitcnt lgkmcnt(1)
	v_cmp_lt_f64_e64 s6, v[1:2], v[3:4]
	v_cmpx_nlt_f64_e32 v[1:2], v[3:4]
	s_cbranch_execz .LBB19_48
; %bb.47:
	v_cmp_eq_f64_e32 vcc_lo, v[1:2], v[3:4]
	s_waitcnt lgkmcnt(0)
	v_cmp_gt_i32_e64 s4, v5, v6
	s_delay_alu instid0(VALU_DEP_4) | instskip(NEXT) | instid1(VALU_DEP_1)
	s_and_not1_b32 s6, s6, exec_lo
	s_and_b32 s4, vcc_lo, s4
	s_delay_alu instid0(SALU_CYCLE_1) | instskip(NEXT) | instid1(SALU_CYCLE_1)
	s_and_b32 s4, s4, exec_lo
	s_or_b32 s6, s6, s4
.LBB19_48:
	s_or_b32 exec_lo, exec_lo, s7
	s_delay_alu instid0(VALU_DEP_2)
	s_and_saveexec_b32 s4, s6
	s_cbranch_execz .LBB19_50
; %bb.49:
	v_mov_b32_e32 v1, v3
	s_waitcnt lgkmcnt(0)
	v_dual_mov_b32 v5, v6 :: v_dual_mov_b32 v2, v4
	ds_store_b64 v17, v[3:4]
	ds_store_b32 v18, v6
.LBB19_50:
	s_or_b32 exec_lo, exec_lo, s4
.LBB19_51:
	s_delay_alu instid0(SALU_CYCLE_1) | instskip(NEXT) | instid1(SALU_CYCLE_1)
	s_or_b32 exec_lo, exec_lo, s5
	s_mov_b32 s6, exec_lo
	s_waitcnt lgkmcnt(0)
	s_barrier
	buffer_gl0_inv
	v_cmpx_gt_u32_e32 32, v0
	s_cbranch_execz .LBB19_74
; %bb.52:
	ds_load_b64 v[3:4], v17 offset:256
	ds_load_b32 v6, v18 offset:128
	s_mov_b32 s7, exec_lo
	s_waitcnt lgkmcnt(1)
	v_cmp_lt_f64_e64 s5, v[1:2], v[3:4]
	v_cmpx_nlt_f64_e32 v[1:2], v[3:4]
	s_cbranch_execz .LBB19_54
; %bb.53:
	v_cmp_eq_f64_e32 vcc_lo, v[1:2], v[3:4]
	s_waitcnt lgkmcnt(0)
	v_cmp_gt_i32_e64 s4, v5, v6
	s_delay_alu instid0(VALU_DEP_4) | instskip(NEXT) | instid1(VALU_DEP_1)
	s_and_not1_b32 s5, s5, exec_lo
	s_and_b32 s4, vcc_lo, s4
	s_delay_alu instid0(SALU_CYCLE_1) | instskip(NEXT) | instid1(SALU_CYCLE_1)
	s_and_b32 s4, s4, exec_lo
	s_or_b32 s5, s5, s4
.LBB19_54:
	s_or_b32 exec_lo, exec_lo, s7
	s_delay_alu instid0(VALU_DEP_2)
	s_and_saveexec_b32 s4, s5
	s_cbranch_execz .LBB19_56
; %bb.55:
	v_dual_mov_b32 v1, v3 :: v_dual_mov_b32 v2, v4
	s_waitcnt lgkmcnt(0)
	v_mov_b32_e32 v5, v6
	ds_store_b64 v17, v[3:4]
	ds_store_b32 v18, v6
.LBB19_56:
	s_or_b32 exec_lo, exec_lo, s4
	ds_load_b64 v[3:4], v17 offset:128
	s_waitcnt lgkmcnt(1)
	ds_load_b32 v6, v18 offset:64
	s_mov_b32 s7, exec_lo
	s_waitcnt lgkmcnt(1)
	v_cmp_lt_f64_e64 s5, v[1:2], v[3:4]
	v_cmpx_nlt_f64_e32 v[1:2], v[3:4]
	s_cbranch_execz .LBB19_58
; %bb.57:
	v_cmp_eq_f64_e32 vcc_lo, v[1:2], v[3:4]
	s_waitcnt lgkmcnt(0)
	v_cmp_gt_i32_e64 s4, v5, v6
	s_delay_alu instid0(VALU_DEP_4) | instskip(NEXT) | instid1(VALU_DEP_1)
	s_and_not1_b32 s5, s5, exec_lo
	s_and_b32 s4, vcc_lo, s4
	s_delay_alu instid0(SALU_CYCLE_1) | instskip(NEXT) | instid1(SALU_CYCLE_1)
	s_and_b32 s4, s4, exec_lo
	s_or_b32 s5, s5, s4
.LBB19_58:
	s_or_b32 exec_lo, exec_lo, s7
	s_delay_alu instid0(VALU_DEP_2)
	s_and_saveexec_b32 s4, s5
	s_cbranch_execz .LBB19_60
; %bb.59:
	v_dual_mov_b32 v1, v3 :: v_dual_mov_b32 v2, v4
	s_waitcnt lgkmcnt(0)
	v_mov_b32_e32 v5, v6
	ds_store_b64 v17, v[3:4]
	ds_store_b32 v18, v6
.LBB19_60:
	s_or_b32 exec_lo, exec_lo, s4
	ds_load_b64 v[3:4], v17 offset:64
	s_waitcnt lgkmcnt(1)
	;; [unrolled: 31-line block ×5, first 2 shown]
	ds_load_b32 v6, v18 offset:4
	s_waitcnt lgkmcnt(1)
	v_cmp_eq_f64_e32 vcc_lo, v[1:2], v[3:4]
	v_cmp_lt_f64_e64 s4, v[1:2], v[3:4]
	s_waitcnt lgkmcnt(0)
	v_cmp_gt_i32_e64 s5, v5, v6
	s_delay_alu instid0(VALU_DEP_1)
	s_and_b32 s5, vcc_lo, s5
	s_delay_alu instid0(VALU_DEP_2) | instid1(SALU_CYCLE_1)
	s_or_b32 s4, s4, s5
	s_delay_alu instid0(SALU_CYCLE_1)
	s_and_b32 exec_lo, exec_lo, s4
	s_cbranch_execz .LBB19_74
; %bb.73:
	ds_store_b64 v17, v[3:4]
	ds_store_b32 v18, v6
.LBB19_74:
	s_or_b32 exec_lo, exec_lo, s6
.LBB19_75:
	s_load_b128 s[4:7], s[0:1], 0x8
	v_mov_b32_e32 v1, 0
	s_waitcnt lgkmcnt(0)
	s_barrier
	buffer_gl0_inv
	s_or_b32 s20, s14, 2
	s_delay_alu instid0(SALU_CYCLE_1) | instskip(NEXT) | instid1(SALU_CYCLE_1)
	s_mul_i32 s20, s20, s15
	s_ashr_i32 s21, s20, 31
	s_delay_alu instid0(SALU_CYCLE_1) | instskip(NEXT) | instid1(SALU_CYCLE_1)
	s_lshl_b64 s[20:21], s[20:21], 3
	s_add_u32 s20, s30, s20
	s_addc_u32 s21, s31, s21
	v_dual_mov_b32 v3, s6 :: v_dual_mov_b32 v4, s7
	ds_load_b64 v[1:2], v1
	s_waitcnt lgkmcnt(0)
	v_mul_f64 v[1:2], v[1:2], s[10:11]
	s_delay_alu instid0(VALU_DEP_1) | instskip(SKIP_4) | instid1(VALU_DEP_3)
	v_cmp_gt_f64_e32 vcc_lo, s[10:11], v[1:2]
	v_readfirstlane_b32 s22, v2
	v_readfirstlane_b32 s23, v1
	v_dual_mov_b32 v1, s4 :: v_dual_mov_b32 v2, s5
	s_and_b32 s26, vcc_lo, exec_lo
	s_cselect_b32 s11, s11, s22
	s_delay_alu instid0(VALU_DEP_2)
	s_cselect_b32 s10, s10, s23
	s_and_not1_b32 vcc_lo, exec_lo, s48
	s_cbranch_vccz .LBB19_78
; %bb.76:
	s_and_saveexec_b32 s0, s2
	s_cbranch_execnz .LBB19_128
.LBB19_77:
	s_nop 0
	s_sendmsg sendmsg(MSG_DEALLOC_VGPRS)
	s_endpgm
.LBB19_78:
	s_lshl_b64 s[48:49], s[18:19], 3
	v_dual_mov_b32 v3, s6 :: v_dual_mov_b32 v4, s7
	s_add_u32 s22, s20, s48
	s_addc_u32 s23, s21, s49
	s_add_u32 s26, s22, s48
	s_addc_u32 s27, s23, s49
	;; [unrolled: 2-line block ×4, first 2 shown]
	s_lshl_b64 s[46:47], s[46:47], 3
	v_dual_mov_b32 v1, s4 :: v_dual_mov_b32 v2, s5
	s_add_u32 s46, s24, s46
	s_addc_u32 s47, s25, s47
	s_lshl_b64 s[24:25], s[44:45], 3
	s_delay_alu instid0(SALU_CYCLE_1)
	s_add_u32 s6, s16, s24
	s_addc_u32 s7, s17, s25
	s_and_saveexec_b32 s5, s2
	s_cbranch_execz .LBB19_86
; %bb.79:
	v_mov_b32_e32 v10, 0
	s_cmp_gt_i32 s13, 1
	s_clause 0x1
	global_load_b64 v[6:7], v10, s[6:7]
	global_load_b64 v[3:4], v10, s[46:47]
	s_cselect_b32 s52, -1, 0
	s_cmp_lt_i32 s13, 2
	s_waitcnt vmcnt(0)
	v_add_f64 v[1:2], v[6:7], -|v[3:4]|
	v_and_b32_e32 v4, 0x7fffffff, v4
	s_delay_alu instid0(VALU_DEP_2) | instskip(NEXT) | instid1(VALU_DEP_1)
	v_add_f64 v[8:9], v[6:7], -v[1:2]
	v_cmp_ge_f64_e32 vcc_lo, s[10:11], v[8:9]
	v_cndmask_b32_e64 v5, 0, 1, vcc_lo
	s_cbranch_scc1 .LBB19_82
; %bb.80:
	v_cmp_gt_f64_e64 s4, v[8:9], -s[10:11]
	s_add_i32 s44, s14, 2
	s_xor_b32 s53, s11, 0x80000000
	s_mul_i32 s44, s15, s44
	s_mov_b32 s54, s33
	s_ashr_i32 s45, s44, 31
	s_delay_alu instid0(SALU_CYCLE_1) | instskip(NEXT) | instid1(VALU_DEP_1)
	s_lshl_b64 s[44:45], s[44:45], 3
	s_and_b32 s4, vcc_lo, s4
	s_add_u32 s44, s44, s30
	v_cndmask_b32_e64 v9, v9, s53, s4
	v_cndmask_b32_e64 v8, v8, s10, s4
	s_addc_u32 s4, s45, s31
	s_add_u32 s44, s44, 24
	s_addc_u32 s45, s4, 0
	s_add_u32 s4, s16, s24
	;; [unrolled: 2-line block ×3, first 2 shown]
	s_addc_u32 s51, s51, 0
	s_set_inst_prefetch_distance 0x1
	.p2align	6
.LBB19_81:                              ; =>This Inner Loop Header: Depth=1
	s_clause 0x1
	global_load_b64 v[11:12], v10, s[44:45]
	global_load_b64 v[13:14], v10, s[50:51]
	s_add_i32 s54, s54, -1
	s_waitcnt vmcnt(1)
	v_div_scale_f64 v[15:16], null, v[8:9], v[8:9], v[11:12]
	v_div_scale_f64 v[21:22], vcc_lo, v[11:12], v[8:9], v[11:12]
	s_waitcnt vmcnt(0)
	v_add_f64 v[13:14], v[13:14], -v[1:2]
	s_delay_alu instid0(VALU_DEP_3) | instskip(SKIP_2) | instid1(VALU_DEP_1)
	v_rcp_f64_e32 v[17:18], v[15:16]
	s_waitcnt_depctr 0xfff
	v_fma_f64 v[19:20], -v[15:16], v[17:18], 1.0
	v_fma_f64 v[17:18], v[17:18], v[19:20], v[17:18]
	s_delay_alu instid0(VALU_DEP_1) | instskip(NEXT) | instid1(VALU_DEP_1)
	v_fma_f64 v[19:20], -v[15:16], v[17:18], 1.0
	v_fma_f64 v[17:18], v[17:18], v[19:20], v[17:18]
	s_delay_alu instid0(VALU_DEP_1) | instskip(NEXT) | instid1(VALU_DEP_1)
	v_mul_f64 v[19:20], v[21:22], v[17:18]
	v_fma_f64 v[15:16], -v[15:16], v[19:20], v[21:22]
	s_delay_alu instid0(VALU_DEP_1) | instskip(NEXT) | instid1(VALU_DEP_1)
	v_div_fmas_f64 v[15:16], v[15:16], v[17:18], v[19:20]
	v_div_fixup_f64 v[8:9], v[15:16], v[8:9], v[11:12]
	s_delay_alu instid0(VALU_DEP_1) | instskip(NEXT) | instid1(VALU_DEP_1)
	v_add_f64 v[8:9], v[13:14], -v[8:9]
	v_cmp_ge_f64_e32 vcc_lo, s[10:11], v[8:9]
	v_cmp_gt_f64_e64 s55, v[8:9], -s[10:11]
	v_add_co_ci_u32_e64 v5, s4, 0, v5, vcc_lo
	s_delay_alu instid0(VALU_DEP_2)
	s_and_b32 s4, vcc_lo, s55
	s_add_u32 s44, s44, 8
	v_cndmask_b32_e64 v9, v9, s53, s4
	v_cndmask_b32_e64 v8, v8, s10, s4
	s_addc_u32 s45, s45, 0
	s_add_u32 s50, s50, 8
	s_addc_u32 s51, s51, 0
	s_cmp_lg_u32 s54, 0
	s_cbranch_scc1 .LBB19_81
.LBB19_82:
	s_set_inst_prefetch_distance 0x2
	v_add_f64 v[3:4], v[6:7], v[3:4]
	s_and_not1_b32 vcc_lo, exec_lo, s52
	s_delay_alu instid0(VALU_DEP_1) | instskip(NEXT) | instid1(VALU_DEP_1)
	v_add_f64 v[7:8], v[6:7], -v[3:4]
	v_cmp_ge_f64_e64 s4, s[10:11], v[7:8]
	s_delay_alu instid0(VALU_DEP_1)
	v_cndmask_b32_e64 v6, 0, 1, s4
	s_cbranch_vccnz .LBB19_85
; %bb.83:
	v_cmp_gt_f64_e64 s50, v[7:8], -s[10:11]
	s_add_i32 s44, s14, 2
	s_xor_b32 s52, s11, 0x80000000
	s_mul_i32 s44, s15, s44
	v_mov_b32_e32 v9, 0
	s_ashr_i32 s45, s44, 31
	s_mov_b32 s53, s33
	s_lshl_b64 s[44:45], s[44:45], 3
	s_delay_alu instid0(VALU_DEP_2)
	s_and_b32 s4, s4, s50
	s_add_u32 s44, s44, s30
	v_cndmask_b32_e64 v8, v8, s52, s4
	v_cndmask_b32_e64 v7, v7, s10, s4
	s_addc_u32 s4, s45, s31
	s_add_u32 s44, s44, 24
	s_addc_u32 s45, s4, 0
	s_add_u32 s4, s16, s24
	;; [unrolled: 2-line block ×3, first 2 shown]
	s_addc_u32 s51, s51, 0
	s_set_inst_prefetch_distance 0x1
	.p2align	6
.LBB19_84:                              ; =>This Inner Loop Header: Depth=1
	s_clause 0x1
	global_load_b64 v[10:11], v9, s[44:45]
	global_load_b64 v[12:13], v9, s[50:51]
	s_add_i32 s53, s53, -1
	s_waitcnt vmcnt(1)
	v_div_scale_f64 v[14:15], null, v[7:8], v[7:8], v[10:11]
	v_div_scale_f64 v[20:21], vcc_lo, v[10:11], v[7:8], v[10:11]
	s_waitcnt vmcnt(0)
	v_add_f64 v[12:13], v[12:13], -v[3:4]
	s_delay_alu instid0(VALU_DEP_3) | instskip(SKIP_2) | instid1(VALU_DEP_1)
	v_rcp_f64_e32 v[16:17], v[14:15]
	s_waitcnt_depctr 0xfff
	v_fma_f64 v[18:19], -v[14:15], v[16:17], 1.0
	v_fma_f64 v[16:17], v[16:17], v[18:19], v[16:17]
	s_delay_alu instid0(VALU_DEP_1) | instskip(NEXT) | instid1(VALU_DEP_1)
	v_fma_f64 v[18:19], -v[14:15], v[16:17], 1.0
	v_fma_f64 v[16:17], v[16:17], v[18:19], v[16:17]
	s_delay_alu instid0(VALU_DEP_1) | instskip(NEXT) | instid1(VALU_DEP_1)
	v_mul_f64 v[18:19], v[20:21], v[16:17]
	v_fma_f64 v[14:15], -v[14:15], v[18:19], v[20:21]
	s_delay_alu instid0(VALU_DEP_1) | instskip(NEXT) | instid1(VALU_DEP_1)
	v_div_fmas_f64 v[14:15], v[14:15], v[16:17], v[18:19]
	v_div_fixup_f64 v[7:8], v[14:15], v[7:8], v[10:11]
	s_delay_alu instid0(VALU_DEP_1) | instskip(NEXT) | instid1(VALU_DEP_1)
	v_add_f64 v[7:8], v[12:13], -v[7:8]
	v_cmp_ge_f64_e32 vcc_lo, s[10:11], v[7:8]
	v_cmp_gt_f64_e64 s54, v[7:8], -s[10:11]
	v_add_co_ci_u32_e64 v6, s4, 0, v6, vcc_lo
	s_delay_alu instid0(VALU_DEP_2)
	s_and_b32 s4, vcc_lo, s54
	s_add_u32 s44, s44, 8
	v_cndmask_b32_e64 v8, v8, s52, s4
	v_cndmask_b32_e64 v7, v7, s10, s4
	s_addc_u32 s45, s45, 0
	s_add_u32 s50, s50, 8
	s_addc_u32 s51, s51, 0
	s_cmp_lg_u32 s53, 0
	s_cbranch_scc1 .LBB19_84
.LBB19_85:
	s_set_inst_prefetch_distance 0x2
	v_mov_b32_e32 v7, 0
	s_clause 0x1
	global_store_b128 v7, v[1:4], s[26:27]
	global_store_b64 v7, v[5:6], s[42:43] offset:8
.LBB19_86:
	s_or_b32 exec_lo, exec_lo, s5
	v_add_nc_u32_e32 v5, 1, v0
	s_add_u32 s54, s42, 8
	s_addc_u32 s55, s43, 0
	s_mov_b32 s5, exec_lo
	s_delay_alu instid0(VALU_DEP_1)
	v_cmpx_gt_i32_e64 s33, v5
	s_cbranch_execz .LBB19_96
; %bb.87:
	s_cmp_gt_i32 s13, 1
	v_mov_b32_e32 v6, 0
	s_cselect_b32 s56, -1, 0
	s_add_u32 s57, s26, 8
	s_addc_u32 s58, s27, 0
	s_add_i32 s4, s14, 2
	s_mov_b32 s59, 0
	s_mul_i32 s42, s15, s4
	s_delay_alu instid0(SALU_CYCLE_1) | instskip(NEXT) | instid1(SALU_CYCLE_1)
	s_ashr_i32 s43, s42, 31
	s_lshl_b64 s[42:43], s[42:43], 3
	s_delay_alu instid0(SALU_CYCLE_1)
	s_add_u32 s4, s42, s30
	s_addc_u32 s43, s43, s31
	s_add_u32 s42, s4, 24
	s_addc_u32 s43, s43, 0
	;; [unrolled: 2-line block ×4, first 2 shown]
	s_xor_b32 s60, s11, 0x80000000
	s_branch .LBB19_89
.LBB19_88:                              ;   in Loop: Header=BB19_89 Depth=1
	s_set_inst_prefetch_distance 0x2
	v_dual_mov_b32 v10, v6 :: v_dual_lshlrev_b32 v9, 1, v5
	v_add_nc_u32_e32 v5, 0x100, v5
	s_delay_alu instid0(VALU_DEP_2) | instskip(SKIP_1) | instid1(VALU_DEP_2)
	v_lshlrev_b64 v[11:12], 3, v[9:10]
	v_lshlrev_b64 v[9:10], 2, v[9:10]
	v_add_co_u32 v13, vcc_lo, s26, v11
	s_delay_alu instid0(VALU_DEP_3) | instskip(SKIP_4) | instid1(VALU_DEP_1)
	v_add_co_ci_u32_e32 v14, vcc_lo, s27, v12, vcc_lo
	v_add_co_u32 v11, vcc_lo, s57, v11
	v_add_co_ci_u32_e32 v12, vcc_lo, s58, v12, vcc_lo
	v_cmp_le_i32_e32 vcc_lo, s33, v5
	v_add_co_u32 v9, s4, s54, v9
	v_add_co_ci_u32_e64 v10, s4, s55, v10, s4
	s_or_b32 s59, vcc_lo, s59
	global_store_b64 v[13:14], v[1:2], off
	global_store_b64 v[11:12], v[3:4], off
	;; [unrolled: 1-line block ×3, first 2 shown]
	s_and_not1_b32 exec_lo, exec_lo, s59
	s_cbranch_execz .LBB19_95
.LBB19_89:                              ; =>This Loop Header: Depth=1
                                        ;     Child Loop BB19_91 Depth 2
                                        ;     Child Loop BB19_94 Depth 2
	v_lshlrev_b64 v[0:1], 3, v[5:6]
	s_delay_alu instid0(VALU_DEP_1) | instskip(NEXT) | instid1(VALU_DEP_2)
	v_add_co_u32 v2, vcc_lo, s46, v0
	v_add_co_ci_u32_e32 v3, vcc_lo, s47, v1, vcc_lo
	v_add_co_u32 v0, vcc_lo, s6, v0
	v_add_co_ci_u32_e32 v1, vcc_lo, s7, v1, vcc_lo
	global_load_b128 v[10:13], v[2:3], off offset:-8
	s_and_not1_b32 vcc_lo, exec_lo, s56
	s_clause 0x1
	global_load_b64 v[3:4], v[0:1], off
	global_load_b64 v[8:9], v6, s[6:7]
	s_waitcnt vmcnt(2)
	v_add_f64 v[10:11], |v[12:13]|, |v[10:11]|
	s_waitcnt vmcnt(1)
	s_delay_alu instid0(VALU_DEP_1) | instskip(SKIP_1) | instid1(VALU_DEP_1)
	v_add_f64 v[1:2], v[3:4], -v[10:11]
	s_waitcnt vmcnt(0)
	v_add_f64 v[12:13], v[8:9], -v[1:2]
	s_delay_alu instid0(VALU_DEP_1) | instskip(NEXT) | instid1(VALU_DEP_1)
	v_cmp_ge_f64_e64 s4, s[10:11], v[12:13]
	v_cndmask_b32_e64 v7, 0, 1, s4
	s_cbranch_vccnz .LBB19_92
; %bb.90:                               ;   in Loop: Header=BB19_89 Depth=1
	v_cmp_gt_f64_e64 s50, v[12:13], -s[10:11]
	s_mov_b64 s[52:53], s[42:43]
	s_mov_b32 s61, s33
	s_delay_alu instid0(VALU_DEP_1)
	s_and_b32 s4, s4, s50
	s_mov_b64 s[50:51], s[44:45]
	v_cndmask_b32_e64 v13, v13, s60, s4
	v_cndmask_b32_e64 v12, v12, s10, s4
	s_set_inst_prefetch_distance 0x1
	.p2align	6
.LBB19_91:                              ;   Parent Loop BB19_89 Depth=1
                                        ; =>  This Inner Loop Header: Depth=2
	s_clause 0x1
	global_load_b64 v[14:15], v6, s[52:53]
	global_load_b64 v[16:17], v6, s[50:51]
	s_add_i32 s61, s61, -1
	s_waitcnt vmcnt(1)
	v_div_scale_f64 v[18:19], null, v[12:13], v[12:13], v[14:15]
	v_div_scale_f64 v[24:25], vcc_lo, v[14:15], v[12:13], v[14:15]
	s_waitcnt vmcnt(0)
	v_add_f64 v[16:17], v[16:17], -v[1:2]
	s_delay_alu instid0(VALU_DEP_3) | instskip(SKIP_2) | instid1(VALU_DEP_1)
	v_rcp_f64_e32 v[20:21], v[18:19]
	s_waitcnt_depctr 0xfff
	v_fma_f64 v[22:23], -v[18:19], v[20:21], 1.0
	v_fma_f64 v[20:21], v[20:21], v[22:23], v[20:21]
	s_delay_alu instid0(VALU_DEP_1) | instskip(NEXT) | instid1(VALU_DEP_1)
	v_fma_f64 v[22:23], -v[18:19], v[20:21], 1.0
	v_fma_f64 v[20:21], v[20:21], v[22:23], v[20:21]
	s_delay_alu instid0(VALU_DEP_1) | instskip(NEXT) | instid1(VALU_DEP_1)
	v_mul_f64 v[22:23], v[24:25], v[20:21]
	v_fma_f64 v[18:19], -v[18:19], v[22:23], v[24:25]
	s_delay_alu instid0(VALU_DEP_1) | instskip(NEXT) | instid1(VALU_DEP_1)
	v_div_fmas_f64 v[18:19], v[18:19], v[20:21], v[22:23]
	v_div_fixup_f64 v[12:13], v[18:19], v[12:13], v[14:15]
	s_delay_alu instid0(VALU_DEP_1) | instskip(NEXT) | instid1(VALU_DEP_1)
	v_add_f64 v[12:13], v[16:17], -v[12:13]
	v_cmp_ge_f64_e32 vcc_lo, s[10:11], v[12:13]
	v_cmp_gt_f64_e64 s62, v[12:13], -s[10:11]
	v_add_co_ci_u32_e64 v7, s4, 0, v7, vcc_lo
	s_delay_alu instid0(VALU_DEP_2)
	s_and_b32 s4, vcc_lo, s62
	s_add_u32 s52, s52, 8
	v_cndmask_b32_e64 v13, v13, s60, s4
	v_cndmask_b32_e64 v12, v12, s10, s4
	s_addc_u32 s53, s53, 0
	s_add_u32 s50, s50, 8
	s_addc_u32 s51, s51, 0
	s_cmp_lg_u32 s61, 0
	s_cbranch_scc1 .LBB19_91
.LBB19_92:                              ;   in Loop: Header=BB19_89 Depth=1
	s_set_inst_prefetch_distance 0x2
	v_add_f64 v[3:4], v[3:4], v[10:11]
	s_and_not1_b32 vcc_lo, exec_lo, s56
	s_delay_alu instid0(VALU_DEP_1) | instskip(NEXT) | instid1(VALU_DEP_1)
	v_add_f64 v[9:10], v[8:9], -v[3:4]
	v_cmp_ge_f64_e64 s4, s[10:11], v[9:10]
	s_delay_alu instid0(VALU_DEP_1)
	v_cndmask_b32_e64 v8, 0, 1, s4
	s_cbranch_vccnz .LBB19_88
; %bb.93:                               ;   in Loop: Header=BB19_89 Depth=1
	v_cmp_gt_f64_e64 s50, v[9:10], -s[10:11]
	s_mov_b64 s[52:53], s[42:43]
	s_mov_b32 s61, s33
	s_delay_alu instid0(VALU_DEP_1)
	s_and_b32 s4, s4, s50
	s_mov_b64 s[50:51], s[44:45]
	v_cndmask_b32_e64 v10, v10, s60, s4
	v_cndmask_b32_e64 v9, v9, s10, s4
	s_set_inst_prefetch_distance 0x1
	.p2align	6
.LBB19_94:                              ;   Parent Loop BB19_89 Depth=1
                                        ; =>  This Inner Loop Header: Depth=2
	s_clause 0x1
	global_load_b64 v[11:12], v6, s[52:53]
	global_load_b64 v[13:14], v6, s[50:51]
	s_add_i32 s61, s61, -1
	s_waitcnt vmcnt(1)
	v_div_scale_f64 v[15:16], null, v[9:10], v[9:10], v[11:12]
	v_div_scale_f64 v[21:22], vcc_lo, v[11:12], v[9:10], v[11:12]
	s_waitcnt vmcnt(0)
	v_add_f64 v[13:14], v[13:14], -v[3:4]
	s_delay_alu instid0(VALU_DEP_3) | instskip(SKIP_2) | instid1(VALU_DEP_1)
	v_rcp_f64_e32 v[17:18], v[15:16]
	s_waitcnt_depctr 0xfff
	v_fma_f64 v[19:20], -v[15:16], v[17:18], 1.0
	v_fma_f64 v[17:18], v[17:18], v[19:20], v[17:18]
	s_delay_alu instid0(VALU_DEP_1) | instskip(NEXT) | instid1(VALU_DEP_1)
	v_fma_f64 v[19:20], -v[15:16], v[17:18], 1.0
	v_fma_f64 v[17:18], v[17:18], v[19:20], v[17:18]
	s_delay_alu instid0(VALU_DEP_1) | instskip(NEXT) | instid1(VALU_DEP_1)
	v_mul_f64 v[19:20], v[21:22], v[17:18]
	v_fma_f64 v[15:16], -v[15:16], v[19:20], v[21:22]
	s_delay_alu instid0(VALU_DEP_1) | instskip(NEXT) | instid1(VALU_DEP_1)
	v_div_fmas_f64 v[15:16], v[15:16], v[17:18], v[19:20]
	v_div_fixup_f64 v[9:10], v[15:16], v[9:10], v[11:12]
	s_delay_alu instid0(VALU_DEP_1) | instskip(NEXT) | instid1(VALU_DEP_1)
	v_add_f64 v[9:10], v[13:14], -v[9:10]
	v_cmp_ge_f64_e32 vcc_lo, s[10:11], v[9:10]
	v_cmp_gt_f64_e64 s62, v[9:10], -s[10:11]
	v_add_co_ci_u32_e64 v8, s4, 0, v8, vcc_lo
	s_delay_alu instid0(VALU_DEP_2)
	s_and_b32 s4, vcc_lo, s62
	s_add_u32 s52, s52, 8
	v_cndmask_b32_e64 v10, v10, s60, s4
	v_cndmask_b32_e64 v9, v9, s10, s4
	s_addc_u32 s53, s53, 0
	s_add_u32 s50, s50, 8
	s_addc_u32 s51, s51, 0
	s_cmp_lg_u32 s61, 0
	s_cbranch_scc1 .LBB19_94
	s_branch .LBB19_88
.LBB19_95:
	s_or_b32 exec_lo, exec_lo, s59
.LBB19_96:
	s_delay_alu instid0(SALU_CYCLE_1)
	s_or_b32 exec_lo, exec_lo, s5
	s_and_saveexec_b32 s42, s3
	s_cbranch_execz .LBB19_104
; %bb.97:
	s_add_u32 s4, s6, s48
	v_mov_b32_e32 v0, 0
	s_addc_u32 s5, s7, s49
	s_add_u32 s44, s46, s48
	s_addc_u32 s45, s47, s49
	s_clause 0x2
	global_load_b64 v[3:4], v0, s[44:45] offset:-16
	global_load_b64 v[6:7], v0, s[4:5] offset:-8
	global_load_b64 v[8:9], v0, s[6:7]
	s_cmp_gt_i32 s13, 1
	s_cselect_b32 s43, -1, 0
	s_cmp_lt_i32 s13, 2
	s_waitcnt vmcnt(1)
	v_add_f64 v[1:2], v[6:7], -|v[3:4]|
	v_and_b32_e32 v4, 0x7fffffff, v4
	s_waitcnt vmcnt(0)
	s_delay_alu instid0(VALU_DEP_2) | instskip(NEXT) | instid1(VALU_DEP_1)
	v_add_f64 v[10:11], v[8:9], -v[1:2]
	v_cmp_ge_f64_e32 vcc_lo, s[10:11], v[10:11]
	v_cndmask_b32_e64 v5, 0, 1, vcc_lo
	s_cbranch_scc1 .LBB19_100
; %bb.98:
	v_cmp_gt_f64_e64 s3, v[10:11], -s[10:11]
	s_add_i32 s4, s14, 2
	s_xor_b32 s44, s11, 0x80000000
	s_mul_i32 s4, s15, s4
	s_mov_b32 s45, s33
	s_ashr_i32 s5, s4, 31
	s_delay_alu instid0(SALU_CYCLE_1) | instskip(NEXT) | instid1(VALU_DEP_1)
	s_lshl_b64 s[4:5], s[4:5], 3
	s_and_b32 s3, vcc_lo, s3
	s_add_u32 s4, s4, s30
	v_cndmask_b32_e64 v11, v11, s44, s3
	v_cndmask_b32_e64 v10, v10, s10, s3
	s_addc_u32 s3, s5, s31
	s_add_u32 s4, s4, 24
	s_addc_u32 s5, s3, 0
	s_add_u32 s3, s16, s24
	;; [unrolled: 2-line block ×3, first 2 shown]
	s_addc_u32 s7, s7, 0
	s_set_inst_prefetch_distance 0x1
	.p2align	6
.LBB19_99:                              ; =>This Inner Loop Header: Depth=1
	s_clause 0x1
	global_load_b64 v[12:13], v0, s[4:5]
	global_load_b64 v[14:15], v0, s[6:7]
	s_add_i32 s45, s45, -1
	s_waitcnt vmcnt(1)
	v_div_scale_f64 v[16:17], null, v[10:11], v[10:11], v[12:13]
	v_div_scale_f64 v[22:23], vcc_lo, v[12:13], v[10:11], v[12:13]
	s_waitcnt vmcnt(0)
	v_add_f64 v[14:15], v[14:15], -v[1:2]
	s_delay_alu instid0(VALU_DEP_3) | instskip(SKIP_2) | instid1(VALU_DEP_1)
	v_rcp_f64_e32 v[18:19], v[16:17]
	s_waitcnt_depctr 0xfff
	v_fma_f64 v[20:21], -v[16:17], v[18:19], 1.0
	v_fma_f64 v[18:19], v[18:19], v[20:21], v[18:19]
	s_delay_alu instid0(VALU_DEP_1) | instskip(NEXT) | instid1(VALU_DEP_1)
	v_fma_f64 v[20:21], -v[16:17], v[18:19], 1.0
	v_fma_f64 v[18:19], v[18:19], v[20:21], v[18:19]
	s_delay_alu instid0(VALU_DEP_1) | instskip(NEXT) | instid1(VALU_DEP_1)
	v_mul_f64 v[20:21], v[22:23], v[18:19]
	v_fma_f64 v[16:17], -v[16:17], v[20:21], v[22:23]
	s_delay_alu instid0(VALU_DEP_1) | instskip(NEXT) | instid1(VALU_DEP_1)
	v_div_fmas_f64 v[16:17], v[16:17], v[18:19], v[20:21]
	v_div_fixup_f64 v[10:11], v[16:17], v[10:11], v[12:13]
	s_delay_alu instid0(VALU_DEP_1) | instskip(NEXT) | instid1(VALU_DEP_1)
	v_add_f64 v[10:11], v[14:15], -v[10:11]
	v_cmp_ge_f64_e32 vcc_lo, s[10:11], v[10:11]
	v_cmp_gt_f64_e64 s46, v[10:11], -s[10:11]
	v_add_co_ci_u32_e64 v5, s3, 0, v5, vcc_lo
	s_delay_alu instid0(VALU_DEP_2)
	s_and_b32 s3, vcc_lo, s46
	s_add_u32 s4, s4, 8
	v_cndmask_b32_e64 v11, v11, s44, s3
	v_cndmask_b32_e64 v10, v10, s10, s3
	s_addc_u32 s5, s5, 0
	s_add_u32 s6, s6, 8
	s_addc_u32 s7, s7, 0
	s_cmp_lg_u32 s45, 0
	s_cbranch_scc1 .LBB19_99
.LBB19_100:
	s_set_inst_prefetch_distance 0x2
	v_add_f64 v[3:4], v[6:7], v[3:4]
	s_and_not1_b32 vcc_lo, exec_lo, s43
	s_delay_alu instid0(VALU_DEP_1) | instskip(NEXT) | instid1(VALU_DEP_1)
	v_add_f64 v[7:8], v[8:9], -v[3:4]
	v_cmp_ge_f64_e64 s3, s[10:11], v[7:8]
	s_delay_alu instid0(VALU_DEP_1)
	v_cndmask_b32_e64 v6, 0, 1, s3
	s_cbranch_vccnz .LBB19_103
; %bb.101:
	v_cmp_gt_f64_e64 s6, v[7:8], -s[10:11]
	s_add_i32 s4, s14, 2
	s_xor_b32 s43, s11, 0x80000000
	s_mul_i32 s4, s15, s4
	v_mov_b32_e32 v0, 0
	s_ashr_i32 s5, s4, 31
	s_delay_alu instid0(SALU_CYCLE_1) | instskip(NEXT) | instid1(VALU_DEP_2)
	s_lshl_b64 s[4:5], s[4:5], 3
	s_and_b32 s3, s3, s6
	s_add_u32 s4, s4, s30
	v_cndmask_b32_e64 v8, v8, s43, s3
	v_cndmask_b32_e64 v7, v7, s10, s3
	s_addc_u32 s3, s5, s31
	s_add_u32 s4, s4, 24
	s_addc_u32 s5, s3, 0
	s_add_u32 s3, s16, s24
	;; [unrolled: 2-line block ×3, first 2 shown]
	s_addc_u32 s7, s7, 0
	s_set_inst_prefetch_distance 0x1
	.p2align	6
.LBB19_102:                             ; =>This Inner Loop Header: Depth=1
	s_clause 0x1
	global_load_b64 v[9:10], v0, s[4:5]
	global_load_b64 v[11:12], v0, s[6:7]
	s_add_i32 s33, s33, -1
	s_waitcnt vmcnt(1)
	v_div_scale_f64 v[13:14], null, v[7:8], v[7:8], v[9:10]
	v_div_scale_f64 v[19:20], vcc_lo, v[9:10], v[7:8], v[9:10]
	s_waitcnt vmcnt(0)
	v_add_f64 v[11:12], v[11:12], -v[3:4]
	s_delay_alu instid0(VALU_DEP_3) | instskip(SKIP_2) | instid1(VALU_DEP_1)
	v_rcp_f64_e32 v[15:16], v[13:14]
	s_waitcnt_depctr 0xfff
	v_fma_f64 v[17:18], -v[13:14], v[15:16], 1.0
	v_fma_f64 v[15:16], v[15:16], v[17:18], v[15:16]
	s_delay_alu instid0(VALU_DEP_1) | instskip(NEXT) | instid1(VALU_DEP_1)
	v_fma_f64 v[17:18], -v[13:14], v[15:16], 1.0
	v_fma_f64 v[15:16], v[15:16], v[17:18], v[15:16]
	s_delay_alu instid0(VALU_DEP_1) | instskip(NEXT) | instid1(VALU_DEP_1)
	v_mul_f64 v[17:18], v[19:20], v[15:16]
	v_fma_f64 v[13:14], -v[13:14], v[17:18], v[19:20]
	s_delay_alu instid0(VALU_DEP_1) | instskip(NEXT) | instid1(VALU_DEP_1)
	v_div_fmas_f64 v[13:14], v[13:14], v[15:16], v[17:18]
	v_div_fixup_f64 v[7:8], v[13:14], v[7:8], v[9:10]
	s_delay_alu instid0(VALU_DEP_1) | instskip(NEXT) | instid1(VALU_DEP_1)
	v_add_f64 v[7:8], v[11:12], -v[7:8]
	v_cmp_ge_f64_e32 vcc_lo, s[10:11], v[7:8]
	v_cmp_gt_f64_e64 s16, v[7:8], -s[10:11]
	v_add_co_ci_u32_e64 v6, s3, 0, v6, vcc_lo
	s_delay_alu instid0(VALU_DEP_2)
	s_and_b32 s3, vcc_lo, s16
	s_add_u32 s4, s4, 8
	v_cndmask_b32_e64 v8, v8, s43, s3
	v_cndmask_b32_e64 v7, v7, s10, s3
	s_addc_u32 s5, s5, 0
	s_add_u32 s6, s6, 8
	s_addc_u32 s7, s7, 0
	s_cmp_lg_u32 s33, 0
	s_cbranch_scc1 .LBB19_102
.LBB19_103:
	s_set_inst_prefetch_distance 0x2
	s_lshl_b64 s[4:5], s[38:39], 3
	v_mov_b32_e32 v0, 0
	s_add_u32 s4, s26, s4
	s_addc_u32 s5, s27, s5
	s_add_u32 s6, s54, s40
	s_addc_u32 s7, s55, s41
	s_clause 0x1
	global_store_b128 v0, v[1:4], s[4:5] offset:-16
	global_store_b64 v0, v[5:6], s[6:7] offset:-8
.LBB19_104:
	s_or_b32 exec_lo, exec_lo, s42
	s_waitcnt_vscnt null, 0x0
	s_barrier
	buffer_gl0_inv
	s_and_saveexec_b32 s3, s2
	s_cbranch_execz .LBB19_127
; %bb.105:
	s_cmp_gt_i32 s13, 0
	s_mov_b32 s4, 1
	s_cselect_b32 s24, -1, 0
	s_cmp_lt_i32 s13, 1
	s_cbranch_scc1 .LBB19_112
; %bb.106:
	s_add_u32 s25, s26, -8
	s_addc_u32 s33, s27, -1
	s_add_u32 s40, s54, -4
	s_addc_u32 s41, s55, -1
	s_add_i32 s14, s14, 2
	v_mov_b32_e32 v4, 0
	s_mul_i32 s6, s15, s14
	s_lshl_b64 s[14:15], s[18:19], 4
	s_ashr_i32 s7, s6, 31
	s_delay_alu instid0(SALU_CYCLE_1) | instskip(NEXT) | instid1(SALU_CYCLE_1)
	s_lshl_b64 s[6:7], s[6:7], 3
	s_add_u32 s5, s14, s6
	s_addc_u32 s6, s15, s7
	s_add_u32 s5, s5, s30
	s_addc_u32 s7, s6, s31
	;; [unrolled: 2-line block ×3, first 2 shown]
	s_branch .LBB19_108
.LBB19_107:                             ;   in Loop: Header=BB19_108 Depth=1
	s_add_i32 s4, s4, 1
	s_add_u32 s6, s6, 8
	s_addc_u32 s7, s7, 0
	s_cmp_lg_u32 s4, s38
	s_cbranch_scc0 .LBB19_112
.LBB19_108:                             ; =>This Loop Header: Depth=1
                                        ;     Child Loop BB19_109 Depth 2
	s_ashr_i32 s5, s4, 31
	s_add_i32 s17, s4, -1
	s_lshl_b64 s[14:15], s[4:5], 3
	s_mov_b64 s[18:19], s[6:7]
	s_add_u32 s14, s25, s14
	s_addc_u32 s15, s33, s15
	s_mov_b32 s30, s4
	global_load_b64 v[0:1], v4, s[14:15]
	s_mov_b32 s16, s17
	s_waitcnt vmcnt(0)
	v_dual_mov_b32 v3, v1 :: v_dual_mov_b32 v2, v0
.LBB19_109:                             ;   Parent Loop BB19_108 Depth=1
                                        ; =>  This Inner Loop Header: Depth=2
	global_load_b64 v[5:6], v4, s[18:19]
	s_waitcnt vmcnt(0)
	v_cmp_lt_f64_e32 vcc_lo, v[5:6], v[2:3]
	s_and_b32 s31, vcc_lo, exec_lo
	v_dual_cndmask_b32 v3, v3, v6 :: v_dual_cndmask_b32 v2, v2, v5
	s_cselect_b32 s16, s30, s16
	s_add_i32 s30, s30, 1
	s_add_u32 s18, s18, 8
	s_addc_u32 s19, s19, 0
	s_cmp_ge_i32 s30, s38
	s_cbranch_scc0 .LBB19_109
; %bb.110:                              ;   in Loop: Header=BB19_108 Depth=1
	s_cmp_lg_u32 s16, s17
	s_cbranch_scc0 .LBB19_107
; %bb.111:                              ;   in Loop: Header=BB19_108 Depth=1
	s_ashr_i32 s17, s16, 31
	s_delay_alu instid0(SALU_CYCLE_1) | instskip(NEXT) | instid1(SALU_CYCLE_1)
	s_lshl_b64 s[18:19], s[16:17], 3
	s_add_u32 s18, s26, s18
	s_addc_u32 s19, s27, s19
	s_lshl_b64 s[16:17], s[16:17], 2
	s_delay_alu instid0(SALU_CYCLE_1) | instskip(SKIP_2) | instid1(SALU_CYCLE_1)
	s_add_u32 s16, s54, s16
	s_addc_u32 s17, s55, s17
	s_lshl_b64 s[30:31], s[4:5], 2
	s_add_u32 s30, s40, s30
	s_addc_u32 s31, s41, s31
	s_clause 0x1
	global_load_b32 v5, v4, s[30:31]
	global_load_b32 v6, v4, s[16:17]
	s_clause 0x1
	global_store_b64 v4, v[0:1], s[18:19]
	global_store_b64 v4, v[2:3], s[14:15]
	s_waitcnt vmcnt(1)
	global_store_b32 v4, v5, s[16:17]
	s_waitcnt vmcnt(0)
	global_store_b32 v4, v6, s[30:31]
	s_branch .LBB19_107
.LBB19_112:
	v_mov_b32_e32 v1, 0
	s_lshl_b64 s[4:5], s[38:39], 3
	v_cvt_f64_i32_e32 v[8:9], s13
	s_add_u32 s4, s22, s4
	s_addc_u32 s5, s23, s5
	s_clause 0x1
	global_load_b64 v[2:3], v1, s[22:23] offset:-8
	global_load_b64 v[4:5], v1, s[4:5] offset:-16
	s_load_b64 s[0:1], s[0:1], 0x18
	v_cndmask_b32_e64 v0, 0, 1, s24
	s_waitcnt vmcnt(0)
	v_cmp_lt_f64_e64 vcc_lo, |v[2:3]|, |v[4:5]|
	v_dual_cndmask_b32 v6, v2, v4 :: v_dual_cndmask_b32 v7, v3, v5
	s_and_not1_b32 vcc_lo, exec_lo, s24
	s_delay_alu instid0(VALU_DEP_1) | instskip(NEXT) | instid1(VALU_DEP_1)
	v_mul_f64 v[6:7], |v[6:7]|, s[8:9]
	v_fma_f64 v[2:3], -v[6:7], v[8:9], v[2:3]
	v_fma_f64 v[4:5], v[6:7], v[8:9], v[4:5]
	s_delay_alu instid0(VALU_DEP_2) | instskip(NEXT) | instid1(VALU_DEP_2)
	v_add_f64 v[2:3], v[2:3], -s[10:11]
	v_add_f64 v[4:5], s[10:11], v[4:5]
	s_clause 0x1
	global_store_b64 v1, v[2:3], s[22:23] offset:-8
	global_store_b64 v1, v[4:5], s[4:5] offset:-16
	s_cbranch_vccnz .LBB19_118
; %bb.113:
	s_max_i32 s7, s38, 2
	s_mov_b32 s8, 0
	s_add_i32 s7, s7, -1
	s_add_u32 s4, s36, s34
	s_addc_u32 s5, s37, s35
	s_add_u32 s4, s4, s28
	s_addc_u32 s5, s5, s29
	;; [unrolled: 2-line block ×3, first 2 shown]
	s_branch .LBB19_115
	.p2align	6
.LBB19_114:                             ;   in Loop: Header=BB19_115 Depth=1
	s_add_i32 s8, s8, 1
	s_add_u32 s4, s4, 4
	s_addc_u32 s5, s5, 0
	s_cmp_eq_u32 s7, s8
	s_mov_b32 s6, s7
	s_cselect_b32 s9, -1, 0
	s_delay_alu instid0(SALU_CYCLE_1)
	s_and_not1_b32 vcc_lo, exec_lo, s9
	s_cbranch_vccz .LBB19_117
.LBB19_115:                             ; =>This Inner Loop Header: Depth=1
	global_load_b32 v2, v1, s[4:5]
	s_waitcnt vmcnt(0) lgkmcnt(0)
	v_cmp_le_i32_e32 vcc_lo, s0, v2
	s_cbranch_vccz .LBB19_114
; %bb.116:
	s_mov_b32 s6, s8
                                        ; implicit-def: $sgpr4_sgpr5
.LBB19_117:
	s_mov_b32 s7, 0
	s_branch .LBB19_119
.LBB19_118:
	s_mov_b64 s[6:7], 0
.LBB19_119:
	s_delay_alu instid0(SALU_CYCLE_1)
	s_lshl_b64 s[4:5], s[6:7], 3
	v_mov_b32_e32 v3, 0
	s_add_u32 s4, s22, s4
	s_addc_u32 s5, s23, s5
	v_cmp_ne_u32_e32 vcc_lo, 1, v0
	s_mov_b32 s6, 1
	global_load_b64 v[1:2], v3, s[4:5] offset:-8
	s_cbranch_vccnz .LBB19_125
; %bb.120:
	s_max_i32 s7, s38, 2
	s_delay_alu instid0(SALU_CYCLE_1)
	s_add_i32 s8, s7, -1
	s_waitcnt lgkmcnt(0)
	s_add_u32 s0, s36, s34
	s_addc_u32 s4, s37, s35
	s_add_u32 s0, s0, s28
	s_addc_u32 s5, s4, s29
	;; [unrolled: 2-line block ×3, first 2 shown]
	s_branch .LBB19_122
	.p2align	6
.LBB19_121:
	s_mov_b32 s0, s6
                                        ; implicit-def: $sgpr4_sgpr5
	s_branch .LBB19_124
.LBB19_122:                             ; =>This Inner Loop Header: Depth=1
	global_load_b32 v0, v3, s[4:5]
	s_waitcnt vmcnt(0)
	v_cmp_gt_i32_e32 vcc_lo, s1, v0
	s_cbranch_vccz .LBB19_121
; %bb.123:                              ;   in Loop: Header=BB19_122 Depth=1
	s_add_i32 s6, s6, 1
	s_add_u32 s4, s4, 4
	s_addc_u32 s5, s5, 0
	s_cmp_eq_u32 s7, s6
	s_mov_b32 s0, s8
	s_cselect_b32 s9, -1, 0
	s_delay_alu instid0(SALU_CYCLE_1)
	s_and_not1_b32 vcc_lo, exec_lo, s9
	s_cbranch_vccnz .LBB19_122
.LBB19_124:
	s_ashr_i32 s1, s0, 31
	s_branch .LBB19_126
.LBB19_125:
	s_waitcnt lgkmcnt(0)
	s_mov_b64 s[0:1], 0
.LBB19_126:
	s_delay_alu instid0(SALU_CYCLE_1)
	s_lshl_b64 s[0:1], s[0:1], 3
	v_mov_b32_e32 v0, 0
	s_add_u32 s0, s22, s0
	s_addc_u32 s1, s23, s1
	global_load_b64 v[3:4], v0, s[0:1] offset:-8
.LBB19_127:
	s_or_b32 exec_lo, exec_lo, s3
	s_and_saveexec_b32 s0, s2
	s_cbranch_execz .LBB19_77
.LBB19_128:
	s_cmpk_eq_i32 s12, 0xe7
	v_dual_mov_b32 v0, 0 :: v_dual_mov_b32 v5, s10
	s_cselect_b32 s0, -1, 0
	v_mov_b32_e32 v6, s11
	s_waitcnt vmcnt(0)
	v_cndmask_b32_e64 v4, v4, 0, s0
	v_cndmask_b32_e64 v3, v3, 0, s0
	;; [unrolled: 1-line block ×4, first 2 shown]
	s_clause 0x1
	global_store_b64 v0, v[5:6], s[20:21] offset:16
	global_store_b128 v0, v[1:4], s[20:21]
	s_nop 0
	s_sendmsg sendmsg(MSG_DEALLOC_VGPRS)
	s_endpgm
	.section	.rodata,"a",@progbits
	.p2align	6, 0x0
	.amdhsa_kernel _ZN9rocsolver6v33100L19stedcx_split_kernelIdEEv15rocblas_erange_iT_S3_iiPS3_lS4_lS4_lPiS4_S3_S3_
		.amdhsa_group_segment_fixed_size 3072
		.amdhsa_private_segment_fixed_size 0
		.amdhsa_kernarg_size 368
		.amdhsa_user_sgpr_count 14
		.amdhsa_user_sgpr_dispatch_ptr 0
		.amdhsa_user_sgpr_queue_ptr 0
		.amdhsa_user_sgpr_kernarg_segment_ptr 1
		.amdhsa_user_sgpr_dispatch_id 0
		.amdhsa_user_sgpr_private_segment_size 0
		.amdhsa_wavefront_size32 1
		.amdhsa_uses_dynamic_stack 0
		.amdhsa_enable_private_segment 0
		.amdhsa_system_sgpr_workgroup_id_x 1
		.amdhsa_system_sgpr_workgroup_id_y 1
		.amdhsa_system_sgpr_workgroup_id_z 0
		.amdhsa_system_sgpr_workgroup_info 0
		.amdhsa_system_vgpr_workitem_id 0
		.amdhsa_next_free_vgpr 27
		.amdhsa_next_free_sgpr 63
		.amdhsa_reserve_vcc 1
		.amdhsa_float_round_mode_32 0
		.amdhsa_float_round_mode_16_64 0
		.amdhsa_float_denorm_mode_32 3
		.amdhsa_float_denorm_mode_16_64 3
		.amdhsa_dx10_clamp 1
		.amdhsa_ieee_mode 1
		.amdhsa_fp16_overflow 0
		.amdhsa_workgroup_processor_mode 1
		.amdhsa_memory_ordered 1
		.amdhsa_forward_progress 0
		.amdhsa_shared_vgpr_count 0
		.amdhsa_exception_fp_ieee_invalid_op 0
		.amdhsa_exception_fp_denorm_src 0
		.amdhsa_exception_fp_ieee_div_zero 0
		.amdhsa_exception_fp_ieee_overflow 0
		.amdhsa_exception_fp_ieee_underflow 0
		.amdhsa_exception_fp_ieee_inexact 0
		.amdhsa_exception_int_div_zero 0
	.end_amdhsa_kernel
	.section	.text._ZN9rocsolver6v33100L19stedcx_split_kernelIdEEv15rocblas_erange_iT_S3_iiPS3_lS4_lS4_lPiS4_S3_S3_,"axG",@progbits,_ZN9rocsolver6v33100L19stedcx_split_kernelIdEEv15rocblas_erange_iT_S3_iiPS3_lS4_lS4_lPiS4_S3_S3_,comdat
.Lfunc_end19:
	.size	_ZN9rocsolver6v33100L19stedcx_split_kernelIdEEv15rocblas_erange_iT_S3_iiPS3_lS4_lS4_lPiS4_S3_S3_, .Lfunc_end19-_ZN9rocsolver6v33100L19stedcx_split_kernelIdEEv15rocblas_erange_iT_S3_iiPS3_lS4_lS4_lPiS4_S3_S3_
                                        ; -- End function
	.section	.AMDGPU.csdata,"",@progbits
; Kernel info:
; codeLenInByte = 7120
; NumSgprs: 65
; NumVgprs: 27
; ScratchSize: 0
; MemoryBound: 0
; FloatMode: 240
; IeeeMode: 1
; LDSByteSize: 3072 bytes/workgroup (compile time only)
; SGPRBlocks: 8
; VGPRBlocks: 3
; NumSGPRsForWavesPerEU: 65
; NumVGPRsForWavesPerEU: 27
; Occupancy: 16
; WaveLimiterHint : 0
; COMPUTE_PGM_RSRC2:SCRATCH_EN: 0
; COMPUTE_PGM_RSRC2:USER_SGPR: 14
; COMPUTE_PGM_RSRC2:TRAP_HANDLER: 0
; COMPUTE_PGM_RSRC2:TGID_X_EN: 1
; COMPUTE_PGM_RSRC2:TGID_Y_EN: 1
; COMPUTE_PGM_RSRC2:TGID_Z_EN: 0
; COMPUTE_PGM_RSRC2:TIDIG_COMP_CNT: 0
	.section	.text._ZN9rocsolver6v33100L20stedcx_divide_kernelIdEEviPT_lS3_lPi,"axG",@progbits,_ZN9rocsolver6v33100L20stedcx_divide_kernelIdEEviPT_lS3_lPi,comdat
	.globl	_ZN9rocsolver6v33100L20stedcx_divide_kernelIdEEviPT_lS3_lPi ; -- Begin function _ZN9rocsolver6v33100L20stedcx_divide_kernelIdEEviPT_lS3_lPi
	.p2align	8
	.type	_ZN9rocsolver6v33100L20stedcx_divide_kernelIdEEviPT_lS3_lPi,@function
_ZN9rocsolver6v33100L20stedcx_divide_kernelIdEEviPT_lS3_lPi: ; @_ZN9rocsolver6v33100L20stedcx_divide_kernelIdEEviPT_lS3_lPi
; %bb.0:
	s_clause 0x1
	s_load_b32 s12, s[0:1], 0x0
	s_load_b64 s[10:11], s[0:1], 0x28
	s_waitcnt lgkmcnt(0)
	s_mul_i32 s2, s12, 5
	s_ashr_i32 s13, s12, 31
	s_add_i32 s2, s2, 2
	s_delay_alu instid0(SALU_CYCLE_1) | instskip(NEXT) | instid1(SALU_CYCLE_1)
	s_mul_i32 s2, s2, s15
	s_ashr_i32 s3, s2, 31
	s_delay_alu instid0(SALU_CYCLE_1) | instskip(SKIP_4) | instid1(SALU_CYCLE_1)
	s_lshl_b64 s[16:17], s[2:3], 2
	s_mov_b32 s2, exec_lo
	s_add_u32 s14, s10, s16
	s_addc_u32 s20, s11, s17
	s_lshl_b64 s[18:19], s[12:13], 2
	s_add_u32 s8, s14, s18
	s_addc_u32 s9, s20, s19
	s_load_b32 s21, s[8:9], 0x4
	s_waitcnt lgkmcnt(0)
	v_cmpx_gt_i32_e64 s21, v0
	s_cbranch_execz .LBB20_19
; %bb.1:
	s_load_b256 s[0:7], s[0:1], 0x8
	s_ashr_i32 s22, s15, 31
	v_mov_b32_e32 v1, 0
	s_waitcnt lgkmcnt(0)
	s_mul_i32 s3, s15, s3
	s_mul_hi_u32 s23, s15, s2
	s_mul_i32 s24, s22, s2
	s_add_i32 s3, s23, s3
	s_mul_i32 s2, s15, s2
	s_add_i32 s3, s3, s24
	s_mul_i32 s23, s15, s7
	s_lshl_b64 s[2:3], s[2:3], 3
	s_mul_hi_u32 s24, s15, s6
	s_add_u32 s7, s0, s2
	s_mul_i32 s25, s22, s6
	s_addc_u32 s22, s1, s3
	s_add_i32 s1, s24, s23
	s_mul_i32 s0, s15, s6
	s_add_i32 s1, s1, s25
	s_mov_b32 s3, 0
	s_lshl_b64 s[0:1], s[0:1], 3
	s_delay_alu instid0(SALU_CYCLE_1)
	s_add_u32 s0, s4, s0
	s_addc_u32 s1, s5, s1
	s_add_u32 s4, s8, s18
	s_addc_u32 s5, s9, s19
	s_add_u32 s6, s0, -8
	s_addc_u32 s15, s1, -1
	s_add_u32 s0, s18, s16
	s_addc_u32 s1, s19, s17
	s_add_u32 s0, s0, s10
	s_addc_u32 s1, s1, s11
	;; [unrolled: 2-line block ×3, first 2 shown]
	s_lshl_b64 s[0:1], s[12:13], 3
	s_mov_b32 s12, 0
	s_add_u32 s0, s0, s16
	s_addc_u32 s1, s1, s17
	s_add_u32 s0, s0, s10
	s_addc_u32 s1, s1, s11
	;; [unrolled: 2-line block ×3, first 2 shown]
	s_branch .LBB20_3
.LBB20_2:                               ;   in Loop: Header=BB20_3 Depth=1
	s_set_inst_prefetch_distance 0x2
	s_or_b32 exec_lo, exec_lo, s1
	v_add_nc_u32_e32 v0, 0x200, v0
	s_delay_alu instid0(VALU_DEP_1) | instskip(SKIP_1) | instid1(SALU_CYCLE_1)
	v_cmp_le_i32_e32 vcc_lo, s21, v0
	s_or_b32 s12, vcc_lo, s12
	s_and_not1_b32 exec_lo, exec_lo, s12
	s_cbranch_execz .LBB20_19
.LBB20_3:                               ; =>This Loop Header: Depth=1
                                        ;     Child Loop BB20_13 Depth 2
                                        ;       Child Loop BB20_14 Depth 3
                                        ;     Child Loop BB20_18 Depth 2
	v_lshlrev_b64 v[2:3], 2, v[0:1]
	v_mov_b32_e32 v10, 0
	s_mov_b32 s0, exec_lo
	s_delay_alu instid0(VALU_DEP_2) | instskip(NEXT) | instid1(VALU_DEP_3)
	v_add_co_u32 v2, vcc_lo, s14, v2
	v_add_co_ci_u32_e32 v3, vcc_lo, s20, v3, vcc_lo
	global_load_b64 v[2:3], v[2:3], off
	s_waitcnt vmcnt(0)
	v_sub_nc_u32_e32 v8, v3, v2
	s_delay_alu instid0(VALU_DEP_1)
	v_cmpx_lt_i32_e32 2, v8
	s_cbranch_execz .LBB20_11
; %bb.4:                                ;   in Loop: Header=BB20_3 Depth=1
	v_mov_b32_e32 v10, 1
	s_mov_b32 s1, exec_lo
	v_cmpx_lt_u32_e32 4, v8
	s_cbranch_execz .LBB20_10
; %bb.5:                                ;   in Loop: Header=BB20_3 Depth=1
	v_mov_b32_e32 v10, 2
	s_mov_b32 s2, exec_lo
	v_cmpx_lt_u32_e32 32, v8
	;; [unrolled: 5-line block ×3, first 2 shown]
; %bb.7:                                ;   in Loop: Header=BB20_3 Depth=1
	v_cmp_gt_u32_e32 vcc_lo, 0x128, v8
	v_cndmask_b32_e64 v3, 7, 5, vcc_lo
	v_cmp_gt_u32_e32 vcc_lo, 0x79b, v8
	s_delay_alu instid0(VALU_DEP_2)
	v_cndmask_b32_e32 v10, 8, v3, vcc_lo
; %bb.8:                                ;   in Loop: Header=BB20_3 Depth=1
	s_or_b32 exec_lo, exec_lo, s13
.LBB20_9:                               ;   in Loop: Header=BB20_3 Depth=1
	s_delay_alu instid0(SALU_CYCLE_1)
	s_or_b32 exec_lo, exec_lo, s2
.LBB20_10:                              ;   in Loop: Header=BB20_3 Depth=1
	s_delay_alu instid0(SALU_CYCLE_1)
	s_or_b32 exec_lo, exec_lo, s1
.LBB20_11:                              ;   in Loop: Header=BB20_3 Depth=1
	s_delay_alu instid0(SALU_CYCLE_1) | instskip(SKIP_1) | instid1(VALU_DEP_1)
	s_or_b32 exec_lo, exec_lo, s0
	v_ashrrev_i32_e32 v3, 31, v2
	v_lshlrev_b64 v[6:7], 2, v[2:3]
	s_delay_alu instid0(VALU_DEP_1) | instskip(NEXT) | instid1(VALU_DEP_2)
	v_add_co_u32 v11, vcc_lo, s8, v6
	v_add_co_ci_u32_e32 v12, vcc_lo, s9, v7, vcc_lo
	s_delay_alu instid0(VALU_DEP_2) | instskip(NEXT) | instid1(VALU_DEP_2)
	v_add_co_u32 v4, vcc_lo, v11, 8
	v_add_co_ci_u32_e32 v5, vcc_lo, 0, v12, vcc_lo
	v_cmp_ne_u32_e32 vcc_lo, 0, v10
	global_store_b32 v[11:12], v8, off offset:8
	s_and_saveexec_b32 s13, vcc_lo
	s_cbranch_execz .LBB20_16
; %bb.12:                               ;   in Loop: Header=BB20_3 Depth=1
	v_add_co_u32 v3, s0, s18, v6
	s_delay_alu instid0(VALU_DEP_1)
	v_add_co_ci_u32_e64 v11, s0, s19, v7, s0
	s_mov_b32 s16, 0
	s_mov_b32 s17, 0
	s_set_inst_prefetch_distance 0x1
	.p2align	6
.LBB20_13:                              ;   Parent Loop BB20_3 Depth=1
                                        ; =>  This Loop Header: Depth=2
                                        ;       Child Loop BB20_14 Depth 3
	s_lshl_b32 s2, 1, s17
	s_delay_alu instid0(SALU_CYCLE_1) | instskip(SKIP_2) | instid1(VALU_DEP_1)
	s_lshl_b64 s[0:1], s[2:3], 2
	s_add_i32 s23, s2, 1
	v_add_co_u32 v8, s0, v3, s0
	v_add_co_ci_u32_e64 v9, s0, s1, v11, s0
	s_lshl_b32 s2, s2, 1
	.p2align	6
.LBB20_14:                              ;   Parent Loop BB20_3 Depth=1
                                        ;     Parent Loop BB20_13 Depth=2
                                        ; =>    This Inner Loop Header: Depth=3
	global_load_b32 v15, v[8:9], off
	s_lshl_b64 s[24:25], s[2:3], 2
	v_add_co_u32 v8, s0, v8, -4
	s_delay_alu instid0(VALU_DEP_1)
	v_add_co_ci_u32_e64 v9, s0, -1, v9, s0
	s_add_i32 s23, s23, -1
	s_add_i32 s2, s2, -2
	s_cmp_lt_i32 s23, 2
	s_waitcnt vmcnt(0)
	v_lshrrev_b32_e32 v12, 31, v15
	s_delay_alu instid0(VALU_DEP_1) | instskip(SKIP_1) | instid1(VALU_DEP_2)
	v_add_nc_u32_e32 v13, v15, v12
	v_add_co_u32 v12, s1, v4, s24
	v_and_b32_e32 v16, -2, v13
	v_ashrrev_i32_e32 v14, 1, v13
	v_add_co_ci_u32_e64 v13, s1, s25, v5, s1
	s_delay_alu instid0(VALU_DEP_3) | instskip(NEXT) | instid1(VALU_DEP_1)
	v_cmp_lt_i32_e64 s1, v16, v15
	v_add_co_ci_u32_e64 v15, s1, 0, v14, s1
	global_store_b64 v[12:13], v[14:15], off offset:-8
	s_cbranch_scc0 .LBB20_14
; %bb.15:                               ;   in Loop: Header=BB20_13 Depth=2
	s_add_i32 s17, s17, 1
	s_delay_alu instid0(SALU_CYCLE_1) | instskip(NEXT) | instid1(VALU_DEP_1)
	v_cmp_eq_u32_e64 s0, s17, v10
	s_or_b32 s16, s0, s16
	s_delay_alu instid0(SALU_CYCLE_1)
	s_and_not1_b32 exec_lo, exec_lo, s16
	s_cbranch_execnz .LBB20_13
.LBB20_16:                              ;   in Loop: Header=BB20_3 Depth=1
	s_set_inst_prefetch_distance 0x2
	s_or_b32 exec_lo, exec_lo, s13
	v_add_co_u32 v8, s0, s4, v6
	s_delay_alu instid0(VALU_DEP_1)
	v_add_co_ci_u32_e64 v9, s0, s5, v7, s0
	global_store_b32 v[8:9], v2, off offset:8
	s_and_saveexec_b32 s1, vcc_lo
	s_cbranch_execz .LBB20_2
; %bb.17:                               ;   in Loop: Header=BB20_3 Depth=1
	v_add_co_u32 v6, vcc_lo, s10, v6
	v_add_co_ci_u32_e32 v7, vcc_lo, s11, v7, vcc_lo
	s_mov_b32 s2, 2
	s_mov_b32 s13, 0
	s_set_inst_prefetch_distance 0x1
	.p2align	6
.LBB20_18:                              ;   Parent Loop BB20_3 Depth=1
                                        ; =>  This Inner Loop Header: Depth=2
	global_load_b32 v3, v[4:5], off
	s_waitcnt vmcnt(0)
	v_add_nc_u32_e32 v2, v3, v2
	s_delay_alu instid0(VALU_DEP_1) | instskip(NEXT) | instid1(VALU_DEP_1)
	v_ashrrev_i32_e32 v3, 31, v2
	v_lshlrev_b64 v[8:9], 3, v[2:3]
	v_lshrrev_b32_e64 v3, v10, s2
	s_add_i32 s2, s2, 1
	s_delay_alu instid0(VALU_DEP_2) | instskip(NEXT) | instid1(VALU_DEP_3)
	v_add_co_u32 v11, vcc_lo, s6, v8
	v_add_co_ci_u32_e32 v12, vcc_lo, s15, v9, vcc_lo
	v_add_co_u32 v8, vcc_lo, s7, v8
	v_add_co_ci_u32_e32 v9, vcc_lo, s22, v9, vcc_lo
	v_add_co_u32 v4, vcc_lo, v4, 4
	global_load_b64 v[15:16], v[11:12], off
	global_load_b128 v[11:14], v[8:9], off offset:-8
	v_add_co_ci_u32_e32 v5, vcc_lo, 0, v5, vcc_lo
	v_cmp_ne_u32_e32 vcc_lo, 0, v3
	global_store_b32 v[6:7], v2, off
	v_add_co_u32 v6, s0, v6, 4
	s_delay_alu instid0(VALU_DEP_1)
	v_add_co_ci_u32_e64 v7, s0, 0, v7, s0
	s_or_b32 s13, vcc_lo, s13
	s_waitcnt vmcnt(0)
	v_add_f64 v[13:14], v[13:14], -v[15:16]
	v_add_f64 v[11:12], v[11:12], -v[15:16]
	global_store_b128 v[8:9], v[11:14], off offset:-8
	s_and_not1_b32 exec_lo, exec_lo, s13
	s_cbranch_execnz .LBB20_18
	s_branch .LBB20_2
.LBB20_19:
	s_nop 0
	s_sendmsg sendmsg(MSG_DEALLOC_VGPRS)
	s_endpgm
	.section	.rodata,"a",@progbits
	.p2align	6, 0x0
	.amdhsa_kernel _ZN9rocsolver6v33100L20stedcx_divide_kernelIdEEviPT_lS3_lPi
		.amdhsa_group_segment_fixed_size 0
		.amdhsa_private_segment_fixed_size 0
		.amdhsa_kernarg_size 48
		.amdhsa_user_sgpr_count 15
		.amdhsa_user_sgpr_dispatch_ptr 0
		.amdhsa_user_sgpr_queue_ptr 0
		.amdhsa_user_sgpr_kernarg_segment_ptr 1
		.amdhsa_user_sgpr_dispatch_id 0
		.amdhsa_user_sgpr_private_segment_size 0
		.amdhsa_wavefront_size32 1
		.amdhsa_uses_dynamic_stack 0
		.amdhsa_enable_private_segment 0
		.amdhsa_system_sgpr_workgroup_id_x 1
		.amdhsa_system_sgpr_workgroup_id_y 0
		.amdhsa_system_sgpr_workgroup_id_z 0
		.amdhsa_system_sgpr_workgroup_info 0
		.amdhsa_system_vgpr_workitem_id 0
		.amdhsa_next_free_vgpr 17
		.amdhsa_next_free_sgpr 26
		.amdhsa_reserve_vcc 1
		.amdhsa_float_round_mode_32 0
		.amdhsa_float_round_mode_16_64 0
		.amdhsa_float_denorm_mode_32 3
		.amdhsa_float_denorm_mode_16_64 3
		.amdhsa_dx10_clamp 1
		.amdhsa_ieee_mode 1
		.amdhsa_fp16_overflow 0
		.amdhsa_workgroup_processor_mode 1
		.amdhsa_memory_ordered 1
		.amdhsa_forward_progress 0
		.amdhsa_shared_vgpr_count 0
		.amdhsa_exception_fp_ieee_invalid_op 0
		.amdhsa_exception_fp_denorm_src 0
		.amdhsa_exception_fp_ieee_div_zero 0
		.amdhsa_exception_fp_ieee_overflow 0
		.amdhsa_exception_fp_ieee_underflow 0
		.amdhsa_exception_fp_ieee_inexact 0
		.amdhsa_exception_int_div_zero 0
	.end_amdhsa_kernel
	.section	.text._ZN9rocsolver6v33100L20stedcx_divide_kernelIdEEviPT_lS3_lPi,"axG",@progbits,_ZN9rocsolver6v33100L20stedcx_divide_kernelIdEEviPT_lS3_lPi,comdat
.Lfunc_end20:
	.size	_ZN9rocsolver6v33100L20stedcx_divide_kernelIdEEviPT_lS3_lPi, .Lfunc_end20-_ZN9rocsolver6v33100L20stedcx_divide_kernelIdEEviPT_lS3_lPi
                                        ; -- End function
	.section	.AMDGPU.csdata,"",@progbits
; Kernel info:
; codeLenInByte = 1020
; NumSgprs: 28
; NumVgprs: 17
; ScratchSize: 0
; MemoryBound: 0
; FloatMode: 240
; IeeeMode: 1
; LDSByteSize: 0 bytes/workgroup (compile time only)
; SGPRBlocks: 3
; VGPRBlocks: 2
; NumSGPRsForWavesPerEU: 28
; NumVGPRsForWavesPerEU: 17
; Occupancy: 16
; WaveLimiterHint : 1
; COMPUTE_PGM_RSRC2:SCRATCH_EN: 0
; COMPUTE_PGM_RSRC2:USER_SGPR: 15
; COMPUTE_PGM_RSRC2:TRAP_HANDLER: 0
; COMPUTE_PGM_RSRC2:TGID_X_EN: 1
; COMPUTE_PGM_RSRC2:TGID_Y_EN: 0
; COMPUTE_PGM_RSRC2:TGID_Z_EN: 0
; COMPUTE_PGM_RSRC2:TIDIG_COMP_CNT: 0
	.section	.text._ZN9rocsolver6v33100L19stedcx_solve_kernelIdEEviPT_lS3_lS3_iilPiS3_S4_S2_S2_S2_,"axG",@progbits,_ZN9rocsolver6v33100L19stedcx_solve_kernelIdEEviPT_lS3_lS3_iilPiS3_S4_S2_S2_S2_,comdat
	.globl	_ZN9rocsolver6v33100L19stedcx_solve_kernelIdEEviPT_lS3_lS3_iilPiS3_S4_S2_S2_S2_ ; -- Begin function _ZN9rocsolver6v33100L19stedcx_solve_kernelIdEEviPT_lS3_lS3_iilPiS3_S4_S2_S2_S2_
	.p2align	8
	.type	_ZN9rocsolver6v33100L19stedcx_solve_kernelIdEEviPT_lS3_lS3_iilPiS3_S4_S2_S2_S2_,@function
_ZN9rocsolver6v33100L19stedcx_solve_kernelIdEEviPT_lS3_lS3_iilPiS3_S4_S2_S2_S2_: ; @_ZN9rocsolver6v33100L19stedcx_solve_kernelIdEEviPT_lS3_lS3_iilPiS3_S4_S2_S2_S2_
; %bb.0:
	s_clause 0x3
	s_load_b128 s[24:27], s[0:1], 0x28
	s_load_b256 s[4:11], s[0:1], 0x38
	s_load_b64 s[34:35], s[0:1], 0x68
	s_load_b128 s[28:31], s[0:1], 0x58
	s_mov_b32 s2, s15
	s_mov_b32 s12, s13
	s_waitcnt lgkmcnt(0)
	s_cmp_lg_u64 s[24:25], 0
	s_cbranch_scc0 .LBB21_253
; %bb.1:
	s_mul_i32 s5, s2, s5
	s_mul_hi_u32 s13, s2, s4
	s_ashr_i32 s3, s2, 31
	s_add_i32 s5, s13, s5
	s_mul_i32 s13, s3, s4
	s_mul_i32 s4, s2, s4
	s_add_i32 s5, s5, s13
	s_ashr_i32 s17, s26, 31
	s_lshl_b64 s[4:5], s[4:5], 3
	s_mov_b32 s16, s26
	s_add_u32 s13, s24, s4
	s_addc_u32 s15, s25, s5
	s_lshl_b64 s[4:5], s[16:17], 3
	s_delay_alu instid0(SALU_CYCLE_1)
	s_add_u32 s4, s13, s4
	s_addc_u32 s5, s15, s5
	s_cbranch_execnz .LBB21_3
.LBB21_2:
	s_ashr_i32 s3, s2, 31
                                        ; implicit-def: $sgpr4_sgpr5
.LBB21_3:
	s_load_b32 s38, s[0:1], 0x0
	s_waitcnt lgkmcnt(0)
	s_mul_i32 s13, s38, 5
	s_delay_alu instid0(SALU_CYCLE_1) | instskip(NEXT) | instid1(SALU_CYCLE_1)
	s_add_i32 s13, s13, 2
	s_mul_i32 s16, s13, s2
	s_delay_alu instid0(SALU_CYCLE_1) | instskip(NEXT) | instid1(SALU_CYCLE_1)
	s_ashr_i32 s17, s16, 31
	s_lshl_b64 s[16:17], s[16:17], 2
	s_delay_alu instid0(SALU_CYCLE_1) | instskip(SKIP_2) | instid1(SALU_CYCLE_1)
	s_add_u32 s26, s10, s16
	s_addc_u32 s33, s11, s17
	s_ashr_i32 s39, s38, 31
	s_lshl_b64 s[24:25], s[38:39], 2
	s_delay_alu instid0(SALU_CYCLE_1)
	s_add_u32 s36, s26, s24
	s_addc_u32 s37, s33, s25
	s_load_b32 s62, s[36:37], 0x4
	s_waitcnt lgkmcnt(0)
	s_cmp_ge_i32 s14, s62
	s_cbranch_scc1 .LBB21_252
; %bb.4:
	s_clause 0x1
	s_load_b256 s[16:23], s[0:1], 0x8
	s_load_b32 s10, s[0:1], 0x7c
	s_mul_i32 s13, s2, s38
	v_mul_f64 v[5:6], s[28:29], s[28:29]
	v_dual_mov_b32 v8, 0 :: v_dual_lshlrev_b32 v1, 3, v0
                                        ; implicit-def: $vgpr72 : SGPR spill to VGPR lane
                                        ; implicit-def: $vgpr13_vgpr14
                                        ; implicit-def: $vgpr15_vgpr16
                                        ; implicit-def: $vgpr17_vgpr18
                                        ; implicit-def: $vgpr9_vgpr10
                                        ; implicit-def: $vgpr58
                                        ; implicit-def: $vgpr11_vgpr12
                                        ; implicit-def: $vgpr61
                                        ; implicit-def: $vgpr19_vgpr20
                                        ; implicit-def: $vgpr21_vgpr22
	s_waitcnt lgkmcnt(0)
	s_mul_i32 s1, s2, s19
	s_mul_hi_u32 s11, s2, s18
	s_mul_i32 s15, s3, s18
	s_add_i32 s1, s11, s1
	s_mul_i32 s0, s2, s18
	s_add_i32 s1, s1, s15
	s_mul_i32 s11, s2, s23
	s_lshl_b64 s[0:1], s[0:1], 3
	s_mul_hi_u32 s15, s2, s22
	s_add_u32 s63, s16, s0
	s_mul_i32 s18, s3, s22
	s_addc_u32 s64, s17, s1
	s_add_i32 s1, s15, s11
	s_mul_i32 s0, s2, s22
	s_add_i32 s1, s1, s18
	s_mov_b32 s18, 0x667f3bcd
	s_lshl_b64 s[16:17], s[0:1], 3
	v_add_co_u32 v54, s1, s4, v1
	s_add_u32 s65, s20, s16
	s_addc_u32 s66, s21, s17
	s_lshl_b64 s[2:3], s[2:3], 2
	v_add_co_ci_u32_e64 v55, null, s5, 0, s1
	s_add_u32 s6, s6, s2
	s_addc_u32 s7, s7, s3
	s_lshl_b32 s2, s13, 1
	s_mov_b32 s16, s27
	s_ashr_i32 s3, s2, 31
	v_cmp_eq_u32_e64 s0, 0, v0
	s_lshl_b64 s[2:3], s[2:3], 3
	s_mov_b32 s11, 0
	s_add_u32 s67, s8, s2
	s_addc_u32 s68, s9, s3
	s_ashr_i32 s13, s12, 31
	s_mov_b32 s19, 0x3ff6a09e
	s_lshl_b64 s[2:3], s[12:13], 2
	s_and_b32 s13, 0xffff, s10
	s_add_u32 s1, s36, s2
	s_addc_u32 s2, s37, s3
	s_ashr_i32 s17, s27, 31
	s_add_u32 s69, s1, 8
	s_addc_u32 s70, s2, 0
	s_add_u32 s71, s69, s24
	s_addc_u32 s72, s70, s25
	s_add_u32 s1, s63, 8
	s_delay_alu instid0(SALU_CYCLE_1)
	v_writelane_b32 v72, s1, 0
	s_addc_u32 s1, s64, 0
	s_lshl_b32 s75, s13, 3
	v_writelane_b32 v72, s1, 1
	s_add_u32 s1, s67, -16
	s_addc_u32 s77, s68, -1
	s_add_u32 s78, s65, -8
	s_addc_u32 s79, s66, -1
	s_lshl_b64 s[8:9], s[16:17], 3
	v_writelane_b32 v72, s1, 2
	v_add_co_u32 v56, s1, s65, v1
	s_sub_u32 s80, 0, s8
	s_subb_u32 s81, 0, s9
	v_add_co_ci_u32_e64 v57, null, s66, 0, s1
	s_add_u32 s82, s63, -8
	s_addc_u32 s83, s64, -1
	s_add_u32 s84, s67, -8
	s_addc_u32 s85, s68, -1
	s_branch .LBB21_7
.LBB21_5:                               ;   in Loop: Header=BB21_7 Depth=1
	s_set_inst_prefetch_distance 0x2
	s_or_b32 exec_lo, exec_lo, s2
	v_dual_mov_b32 v21, v29 :: v_dual_mov_b32 v22, v30
	v_dual_mov_b32 v19, v27 :: v_dual_mov_b32 v20, v28
	v_mov_b32_e32 v61, v24
	s_waitcnt_vscnt null, 0x0
	s_barrier
	buffer_gl0_inv
.LBB21_6:                               ;   in Loop: Header=BB21_7 Depth=1
	s_add_i32 s14, s14, 8
	s_delay_alu instid0(SALU_CYCLE_1)
	s_cmp_ge_i32 s14, s62
	s_cbranch_scc1 .LBB21_252
.LBB21_7:                               ; =>This Loop Header: Depth=1
                                        ;     Child Loop BB21_24 Depth 2
                                        ;     Child Loop BB21_37 Depth 2
	;; [unrolled: 1-line block ×3, first 2 shown]
                                        ;       Child Loop BB21_47 Depth 3
                                        ;       Child Loop BB21_55 Depth 3
	;; [unrolled: 1-line block ×3, first 2 shown]
                                        ;         Child Loop BB21_70 Depth 4
                                        ;         Child Loop BB21_89 Depth 4
                                        ;         Child Loop BB21_139 Depth 4
                                        ;           Child Loop BB21_140 Depth 5
                                        ;       Child Loop BB21_146 Depth 3
                                        ;         Child Loop BB21_155 Depth 4
                                        ;         Child Loop BB21_174 Depth 4
	;; [unrolled: 1-line block ×3, first 2 shown]
                                        ;           Child Loop BB21_225 Depth 5
                                        ;       Child Loop BB21_233 Depth 3
                                        ;       Child Loop BB21_240 Depth 3
                                        ;     Child Loop BB21_249 Depth 2
	s_ashr_i32 s15, s14, 31
	s_delay_alu instid0(SALU_CYCLE_1) | instskip(NEXT) | instid1(SALU_CYCLE_1)
	s_lshl_b64 s[2:3], s[14:15], 2
	s_add_u32 s2, s26, s2
	s_addc_u32 s3, s33, s3
	global_load_b64 v[1:2], v8, s[2:3]
	s_waitcnt vmcnt(0)
	v_readfirstlane_b32 s2, v1
	v_readfirstlane_b32 s1, v2
	s_delay_alu instid0(VALU_DEP_1)
	s_sub_i32 s15, s1, s2
	s_mov_b32 s1, s11
	s_cmp_lt_i32 s15, 3
	s_cbranch_scc1 .LBB21_12
; %bb.8:                                ;   in Loop: Header=BB21_7 Depth=1
	s_cmp_lt_u32 s15, 5
	s_mov_b32 s1, 1
	s_cbranch_scc1 .LBB21_12
; %bb.9:                                ;   in Loop: Header=BB21_7 Depth=1
	s_cmp_lt_u32 s15, 33
	s_mov_b32 s1, 2
	s_cbranch_scc1 .LBB21_12
; %bb.10:                               ;   in Loop: Header=BB21_7 Depth=1
	s_cmpk_lt_u32 s15, 0xe9
	s_mov_b32 s1, 4
	s_cbranch_scc1 .LBB21_12
; %bb.11:                               ;   in Loop: Header=BB21_7 Depth=1
	s_cmpk_lt_u32 s15, 0x128
	s_cselect_b32 s1, 5, 7
	s_cmpk_lt_u32 s15, 0x79b
	s_cselect_b32 s1, s1, 8
.LBB21_12:                              ;   in Loop: Header=BB21_7 Depth=1
	s_delay_alu instid0(SALU_CYCLE_1) | instskip(NEXT) | instid1(SALU_CYCLE_1)
	s_lshl_b32 s1, 1, s1
	s_cmp_ge_i32 s12, s1
	s_cbranch_scc1 .LBB21_6
; %bb.13:                               ;   in Loop: Header=BB21_7 Depth=1
	s_ashr_i32 s3, s2, 31
	s_delay_alu instid0(SALU_CYCLE_1) | instskip(NEXT) | instid1(SALU_CYCLE_1)
	s_lshl_b64 s[2:3], s[2:3], 2
	s_add_u32 s20, s69, s2
	s_addc_u32 s21, s70, s3
	s_add_u32 s2, s71, s2
	s_addc_u32 s3, s72, s3
	s_clause 0x1
	global_load_b32 v1, v8, s[20:21]
	global_load_b32 v2, v8, s[2:3]
	s_waitcnt vmcnt(1)
	v_readfirstlane_b32 s24, v1
	s_waitcnt vmcnt(0)
	v_readfirstlane_b32 s22, v2
	s_and_saveexec_b32 s1, s0
	s_cbranch_execz .LBB21_15
; %bb.14:                               ;   in Loop: Header=BB21_7 Depth=1
	ds_store_2addr_b32 v8, v8, v8 offset0:6 offset1:9
.LBB21_15:                              ;   in Loop: Header=BB21_7 Depth=1
	s_or_b32 exec_lo, exec_lo, s1
	s_waitcnt lgkmcnt(0)
	s_barrier
	buffer_gl0_inv
	ds_load_2addr_b32 v[1:2], v8 offset0:6 offset1:9
	s_mul_i32 s15, s15, 30
	s_ashr_i32 s23, s22, 31
	s_add_i32 s20, s24, -1
	s_waitcnt lgkmcnt(0)
	v_cmp_gt_i32_e32 vcc_lo, s24, v1
	v_cmp_gt_i32_e64 s1, s15, v2
	v_readfirstlane_b32 s52, v1
	s_delay_alu instid0(VALU_DEP_2) | instskip(NEXT) | instid1(SALU_CYCLE_1)
	s_and_b32 s1, vcc_lo, s1
	s_and_not1_b32 vcc_lo, exec_lo, s1
	s_cbranch_vccnz .LBB21_245
; %bb.16:                               ;   in Loop: Header=BB21_7 Depth=1
	s_lshl_b64 s[36:37], s[22:23], 3
	s_mul_i32 s2, s22, s27
	s_add_u32 s38, s63, s36
	s_addc_u32 s39, s64, s37
	s_add_u32 s86, s65, s36
	s_addc_u32 s87, s66, s37
	s_ashr_i32 s3, s2, 31
	v_readlane_b32 s1, v72, 0
	s_lshl_b64 s[2:3], s[2:3], 3
	s_delay_alu instid0(SALU_CYCLE_1)
	s_add_u32 s10, s36, s2
	s_addc_u32 s21, s37, s3
	s_add_u32 s88, s10, s4
	s_addc_u32 s89, s21, s5
	s_lshl_b32 s2, s22, 1
	v_add_co_u32 v59, vcc_lo, v54, s10
	s_ashr_i32 s3, s2, 31
	v_add_co_ci_u32_e32 v60, vcc_lo, s21, v55, vcc_lo
	s_lshl_b64 s[2:3], s[2:3], 3
	s_delay_alu instid0(SALU_CYCLE_1)
	s_add_u32 s40, s67, s2
	s_addc_u32 s41, s68, s3
	s_ashr_i32 s25, s24, 31
	s_add_u32 s90, s86, -8
	s_addc_u32 s91, s87, -1
	s_add_u32 s42, s40, -8
	s_addc_u32 s43, s41, -1
	s_add_u32 s92, s65, s36
	s_addc_u32 s93, s66, s37
	s_add_u32 s94, s1, s36
	v_readlane_b32 s1, v72, 1
	s_delay_alu instid0(VALU_DEP_1)
	s_addc_u32 s95, s1, s37
	s_add_u32 s96, s63, s36
	s_addc_u32 s97, s64, s37
	s_lshl_b64 s[44:45], s[24:25], 3
	v_readlane_b32 s25, v72, 2
	s_add_u32 s50, s44, s2
	s_addc_u32 s51, s45, s3
	v_cmp_gt_i32_e64 s1, s24, v0
	s_delay_alu instid0(VALU_DEP_2)
	s_add_u32 s46, s25, s50
	s_addc_u32 s47, s77, s51
	s_add_u32 s48, s78, s36
	s_addc_u32 s49, s79, s37
	s_add_u32 s25, s44, -8
	s_addc_u32 s98, s45, -1
	s_add_u32 s99, s67, s2
	s_addc_u32 s100, s68, s3
	s_add_u32 s101, s82, s36
	s_addc_u32 s102, s83, s37
	s_add_u32 s50, s84, s50
	s_addc_u32 s51, s85, s51
	s_and_saveexec_b32 s10, s0
	s_cbranch_execz .LBB21_40
.LBB21_17:                              ;   in Loop: Header=BB21_7 Depth=1
	s_cmp_lt_i32 s52, 1
	s_cbranch_scc1 .LBB21_19
; %bb.18:                               ;   in Loop: Header=BB21_7 Depth=1
	s_mov_b32 s53, s11
	v_mov_b32_e32 v7, v8
	s_lshl_b64 s[2:3], s[52:53], 3
	s_delay_alu instid0(SALU_CYCLE_1)
	s_add_u32 s2, s90, s2
	s_addc_u32 s3, s91, s3
	global_store_b64 v8, v[7:8], s[2:3]
.LBB21_19:                              ;   in Loop: Header=BB21_7 Depth=1
	s_mov_b32 s2, -1
	s_mov_b32 s54, 0
	s_cmp_lt_i32 s52, s20
	s_mov_b32 s103, 0
	s_cbranch_scc1 .LBB21_21
; %bb.20:                               ;   in Loop: Header=BB21_7 Depth=1
	s_ashr_i32 s53, s52, 31
	s_mov_b32 s2, 0
	s_mov_b32 s103, -1
.LBB21_21:                              ;   in Loop: Header=BB21_7 Depth=1
	s_and_not1_b32 vcc_lo, exec_lo, s2
	s_cbranch_vccnz .LBB21_26
; %bb.22:                               ;   in Loop: Header=BB21_7 Depth=1
	s_ashr_i32 s53, s52, 31
	s_delay_alu instid0(SALU_CYCLE_1)
	s_lshl_b64 s[54:55], s[52:53], 3
	s_mov_b64 s[56:57], s[52:53]
	s_add_u32 s2, s92, s54
	s_addc_u32 s3, s93, s55
	s_add_u32 s54, s94, s54
	s_addc_u32 s55, s95, s55
	s_branch .LBB21_24
.LBB21_23:                              ;   in Loop: Header=BB21_24 Depth=2
	s_and_not1_b32 vcc_lo, exec_lo, s73
	s_cbranch_vccz .LBB21_27
.LBB21_24:                              ;   Parent Loop BB21_7 Depth=1
                                        ; =>  This Inner Loop Header: Depth=2
	s_clause 0x1
	global_load_b128 v[1:4], v8, s[54:55] offset:-8
	global_load_b64 v[29:30], v8, s[2:3]
	s_mov_b64 s[58:59], s[2:3]
	s_mov_b32 s73, -1
	s_waitcnt vmcnt(1)
	v_cmp_gt_f64_e64 s21, 0x10000000, |v[1:2]|
	v_cmp_gt_f64_e64 s60, 0x10000000, |v[3:4]|
	s_delay_alu instid0(VALU_DEP_2) | instskip(NEXT) | instid1(VALU_DEP_2)
	v_cndmask_b32_e64 v7, 0, 1, s21
	v_cndmask_b32_e64 v13, 0, 1, s60
	s_and_b32 s2, s21, exec_lo
	s_cselect_b32 s2, 0xffffff80, 0
	s_and_b32 s3, s60, exec_lo
	v_lshlrev_b32_e32 v7, 8, v7
	v_lshlrev_b32_e32 v13, 8, v13
	s_cselect_b32 s3, 0xffffff80, 0
	s_mov_b64 s[60:61], s[56:57]
	s_mov_b32 s21, -1
	v_ldexp_f64 v[1:2], |v[1:2]|, v7
	v_ldexp_f64 v[3:4], |v[3:4]|, v13
                                        ; implicit-def: $sgpr56_sgpr57
	s_delay_alu instid0(VALU_DEP_2) | instskip(NEXT) | instid1(VALU_DEP_1)
	v_rsq_f64_e32 v[13:14], v[1:2]
	v_rsq_f64_e32 v[15:16], v[3:4]
	v_cmp_class_f64_e64 vcc_lo, v[1:2], 0x260
	s_waitcnt_depctr 0xfff
	v_mul_f64 v[17:18], v[1:2], v[13:14]
	v_mul_f64 v[13:14], v[13:14], 0.5
	v_mul_f64 v[23:24], v[3:4], v[15:16]
	v_mul_f64 v[15:16], v[15:16], 0.5
	s_delay_alu instid0(VALU_DEP_3) | instskip(NEXT) | instid1(VALU_DEP_2)
	v_fma_f64 v[25:26], -v[13:14], v[17:18], 0.5
	v_fma_f64 v[27:28], -v[15:16], v[23:24], 0.5
	s_delay_alu instid0(VALU_DEP_2) | instskip(SKIP_1) | instid1(VALU_DEP_3)
	v_fma_f64 v[17:18], v[17:18], v[25:26], v[17:18]
	v_fma_f64 v[13:14], v[13:14], v[25:26], v[13:14]
	;; [unrolled: 1-line block ×4, first 2 shown]
	s_delay_alu instid0(VALU_DEP_4) | instskip(NEXT) | instid1(VALU_DEP_3)
	v_fma_f64 v[25:26], -v[17:18], v[17:18], v[1:2]
	v_fma_f64 v[27:28], -v[23:24], v[23:24], v[3:4]
	s_delay_alu instid0(VALU_DEP_2) | instskip(NEXT) | instid1(VALU_DEP_2)
	v_fma_f64 v[17:18], v[25:26], v[13:14], v[17:18]
	v_fma_f64 v[23:24], v[27:28], v[15:16], v[23:24]
	s_delay_alu instid0(VALU_DEP_2) | instskip(NEXT) | instid1(VALU_DEP_2)
	v_fma_f64 v[25:26], -v[17:18], v[17:18], v[1:2]
	v_fma_f64 v[27:28], -v[23:24], v[23:24], v[3:4]
	s_delay_alu instid0(VALU_DEP_2) | instskip(NEXT) | instid1(VALU_DEP_2)
	v_fma_f64 v[13:14], v[25:26], v[13:14], v[17:18]
	v_fma_f64 v[15:16], v[27:28], v[15:16], v[23:24]
	s_delay_alu instid0(VALU_DEP_2) | instskip(SKIP_1) | instid1(VALU_DEP_3)
	v_ldexp_f64 v[13:14], v[13:14], s2
	v_cmp_class_f64_e64 s2, v[3:4], 0x260
	v_ldexp_f64 v[15:16], v[15:16], s3
	s_delay_alu instid0(VALU_DEP_3) | instskip(NEXT) | instid1(VALU_DEP_2)
	v_dual_cndmask_b32 v2, v14, v2 :: v_dual_cndmask_b32 v1, v13, v1
	v_cndmask_b32_e64 v4, v16, v4, s2
	s_delay_alu instid0(VALU_DEP_3) | instskip(NEXT) | instid1(VALU_DEP_1)
	v_cndmask_b32_e64 v3, v15, v3, s2
	v_mul_f64 v[1:2], v[1:2], v[3:4]
	s_delay_alu instid0(VALU_DEP_1) | instskip(SKIP_1) | instid1(VALU_DEP_1)
	v_mul_f64 v[1:2], v[1:2], s[28:29]
	s_waitcnt vmcnt(0)
	v_cmp_nle_f64_e64 s2, |v[29:30]|, v[1:2]
	s_delay_alu instid0(VALU_DEP_1)
	s_and_b32 vcc_lo, exec_lo, s2
                                        ; implicit-def: $sgpr2_sgpr3
	s_cbranch_vccz .LBB21_23
; %bb.25:                               ;   in Loop: Header=BB21_24 Depth=2
	s_add_u32 s56, s60, 1
	s_addc_u32 s57, s61, 0
	s_add_u32 s2, s58, 8
	s_addc_u32 s3, s59, 0
	;; [unrolled: 2-line block ×3, first 2 shown]
	s_cmp_ge_i32 s56, s20
	s_mov_b32 s21, 0
	s_cselect_b32 s73, -1, 0
	s_branch .LBB21_23
.LBB21_26:                              ;   in Loop: Header=BB21_7 Depth=1
	s_mov_b32 s21, s52
	s_mov_b64 s[2:3], s[52:53]
	s_and_b32 vcc_lo, exec_lo, s103
	s_cbranch_vccnz .LBB21_30
	s_branch .LBB21_31
.LBB21_27:                              ;   in Loop: Header=BB21_7 Depth=1
	s_xor_b32 s2, s21, -1
	s_mov_b32 s54, -1
	s_and_b32 vcc_lo, exec_lo, s2
                                        ; implicit-def: $sgpr2_sgpr3
	s_cbranch_vccz .LBB21_29
; %bb.28:                               ;   in Loop: Header=BB21_7 Depth=1
	s_ashr_i32 s21, s20, 31
	s_mov_b32 s103, -1
	s_mov_b32 s54, 0
	s_mov_b64 s[2:3], s[20:21]
.LBB21_29:                              ;   in Loop: Header=BB21_7 Depth=1
	v_dual_mov_b32 v13, s60 :: v_dual_mov_b32 v14, s61
	v_dual_mov_b32 v15, s58 :: v_dual_mov_b32 v16, s59
	;; [unrolled: 1-line block ×3, first 2 shown]
	s_mov_b32 s21, s20
	s_and_b32 vcc_lo, exec_lo, s103
	s_cbranch_vccz .LBB21_31
.LBB21_30:                              ;   in Loop: Header=BB21_7 Depth=1
	v_mov_b32_e32 v1, s21
	ds_store_b32 v8, v1 offset:20
.LBB21_31:                              ;   in Loop: Header=BB21_7 Depth=1
	v_dual_mov_b32 v1, s52 :: v_dual_mov_b32 v2, s53
	v_dual_mov_b32 v4, s3 :: v_dual_mov_b32 v3, s2
	v_mov_b32_e32 v25, s21
	s_and_not1_b32 vcc_lo, exec_lo, s54
	s_cbranch_vccnz .LBB21_33
; %bb.32:                               ;   in Loop: Header=BB21_7 Depth=1
	v_mov_b32_e32 v1, v17
	v_dual_mov_b32 v3, v13 :: v_dual_mov_b32 v4, v14
	v_dual_mov_b32 v7, v8 :: v_dual_mov_b32 v2, v18
	v_mov_b32_e32 v25, v13
	ds_store_b32 v8, v13 offset:20
	global_store_b64 v[15:16], v[7:8], off
.LBB21_33:                              ;   in Loop: Header=BB21_7 Depth=1
	s_delay_alu instid0(VALU_DEP_2) | instskip(SKIP_1) | instid1(VALU_DEP_2)
	v_lshlrev_b64 v[3:4], 3, v[3:4]
	v_lshlrev_b64 v[23:24], 3, v[1:2]
	v_add_co_u32 v1, vcc_lo, s38, v3
	s_delay_alu instid0(VALU_DEP_3) | instskip(NEXT) | instid1(VALU_DEP_3)
	v_add_co_ci_u32_e32 v2, vcc_lo, s39, v4, vcc_lo
	v_add_co_u32 v3, vcc_lo, s38, v23
	s_delay_alu instid0(VALU_DEP_4)
	v_add_co_ci_u32_e32 v4, vcc_lo, s39, v24, vcc_lo
	s_clause 0x1
	global_load_b64 v[1:2], v[1:2], off
	global_load_b64 v[3:4], v[3:4], off
	s_waitcnt vmcnt(0)
	v_cmp_lt_f64_e64 s3, |v[1:2]|, |v[3:4]|
	v_dual_mov_b32 v4, s52 :: v_dual_add_nc_u32 v3, 1, v25
	ds_store_2addr_b32 v8, v25, v25 offset0:8 offset1:10
	ds_store_b32 v8, v4 offset:16
	ds_store_b64 v8, v[3:4] offset:24
	s_and_saveexec_b32 s2, s3
	s_cbranch_execz .LBB21_35
; %bb.34:                               ;   in Loop: Header=BB21_7 Depth=1
	v_mov_b32_e32 v3, s52
	ds_store_2addr_b32 v8, v25, v3 offset0:4 offset1:8
.LBB21_35:                              ;   in Loop: Header=BB21_7 Depth=1
	s_or_b32 exec_lo, exec_lo, s2
	v_and_b32_e32 v2, 0x7fffffff, v2
	s_mov_b32 s3, exec_lo
	v_cmpx_lt_i32_e64 s52, v25
	s_cbranch_execz .LBB21_39
; %bb.36:                               ;   in Loop: Header=BB21_7 Depth=1
	v_add_co_u32 v3, vcc_lo, s96, v23
	v_add_co_ci_u32_e32 v4, vcc_lo, s97, v24, vcc_lo
	v_add_co_u32 v23, vcc_lo, s92, v23
	v_add_co_ci_u32_e32 v24, vcc_lo, s93, v24, vcc_lo
	s_mov_b32 s21, 0
	.p2align	6
.LBB21_37:                              ;   Parent Loop BB21_7 Depth=1
                                        ; =>  This Inner Loop Header: Depth=2
	global_load_b64 v[26:27], v[23:24], off
	global_load_b64 v[28:29], v[3:4], off
	v_max_f64 v[1:2], v[1:2], v[1:2]
	v_add_co_u32 v3, vcc_lo, v3, 8
	s_add_i32 s52, s52, 1
	v_add_co_ci_u32_e32 v4, vcc_lo, 0, v4, vcc_lo
	v_cmp_ge_i32_e32 vcc_lo, s52, v25
	v_add_co_u32 v23, s2, v23, 8
	s_delay_alu instid0(VALU_DEP_1)
	v_add_co_ci_u32_e64 v24, s2, 0, v24, s2
	s_or_b32 s21, vcc_lo, s21
	s_waitcnt vmcnt(1)
	v_max_f64 v[26:27], |v[26:27]|, |v[26:27]|
	s_waitcnt vmcnt(0)
	v_max_f64 v[28:29], |v[28:29]|, |v[28:29]|
	s_delay_alu instid0(VALU_DEP_1) | instskip(NEXT) | instid1(VALU_DEP_1)
	v_max_f64 v[26:27], v[28:29], v[26:27]
	v_max_f64 v[1:2], v[1:2], v[26:27]
	s_and_not1_b32 exec_lo, exec_lo, s21
	s_cbranch_execnz .LBB21_37
; %bb.38:                               ;   in Loop: Header=BB21_7 Depth=1
	s_or_b32 exec_lo, exec_lo, s21
.LBB21_39:                              ;   in Loop: Header=BB21_7 Depth=1
	s_delay_alu instid0(SALU_CYCLE_1)
	s_or_b32 exec_lo, exec_lo, s3
	ds_store_b64 v8, v[1:2] offset:8
.LBB21_40:                              ;   Parent Loop BB21_7 Depth=1
                                        ; =>  This Loop Header: Depth=2
                                        ;       Child Loop BB21_47 Depth 3
                                        ;       Child Loop BB21_55 Depth 3
	;; [unrolled: 1-line block ×3, first 2 shown]
                                        ;         Child Loop BB21_70 Depth 4
                                        ;         Child Loop BB21_89 Depth 4
	;; [unrolled: 1-line block ×3, first 2 shown]
                                        ;           Child Loop BB21_140 Depth 5
                                        ;       Child Loop BB21_146 Depth 3
                                        ;         Child Loop BB21_155 Depth 4
                                        ;         Child Loop BB21_174 Depth 4
                                        ;         Child Loop BB21_224 Depth 4
                                        ;           Child Loop BB21_225 Depth 5
                                        ;       Child Loop BB21_233 Depth 3
                                        ;       Child Loop BB21_240 Depth 3
	s_or_b32 exec_lo, exec_lo, s10
	s_waitcnt lgkmcnt(0)
	s_waitcnt_vscnt null, 0x0
	s_barrier
	buffer_gl0_inv
	ds_load_b64 v[1:2], v8 offset:8
	ds_load_2addr_b32 v[3:4], v8 offset0:4 offset1:8
	s_waitcnt lgkmcnt(1)
	v_cmp_eq_f64_e32 vcc_lo, 0, v[1:2]
	s_waitcnt lgkmcnt(0)
	v_cmp_eq_u32_e64 s2, v4, v3
	s_delay_alu instid0(VALU_DEP_1) | instskip(NEXT) | instid1(SALU_CYCLE_1)
	s_or_b32 s2, s2, vcc_lo
	s_and_b32 vcc_lo, exec_lo, s2
	s_cbranch_vccnz .LBB21_142
; %bb.41:                               ;   in Loop: Header=BB21_40 Depth=2
	v_cmp_nlt_f64_e32 vcc_lo, s[34:35], v[1:2]
	s_mov_b32 s2, -1
	s_cbranch_vccz .LBB21_50
; %bb.42:                               ;   in Loop: Header=BB21_40 Depth=2
	v_cmp_ngt_f64_e32 vcc_lo, s[30:31], v[1:2]
	s_cbranch_vccnz .LBB21_49
; %bb.43:                               ;   in Loop: Header=BB21_40 Depth=2
	v_div_scale_f64 v[3:4], null, s[30:31], s[30:31], v[1:2]
	s_delay_alu instid0(VALU_DEP_1) | instskip(SKIP_2) | instid1(VALU_DEP_1)
	v_rcp_f64_e32 v[23:24], v[3:4]
	s_waitcnt_depctr 0xfff
	v_fma_f64 v[25:26], -v[3:4], v[23:24], 1.0
	v_fma_f64 v[23:24], v[23:24], v[25:26], v[23:24]
	s_delay_alu instid0(VALU_DEP_1) | instskip(NEXT) | instid1(VALU_DEP_1)
	v_fma_f64 v[25:26], -v[3:4], v[23:24], 1.0
	v_fma_f64 v[23:24], v[23:24], v[25:26], v[23:24]
	v_div_scale_f64 v[25:26], vcc_lo, v[1:2], s[30:31], v[1:2]
	s_delay_alu instid0(VALU_DEP_1) | instskip(NEXT) | instid1(VALU_DEP_1)
	v_mul_f64 v[27:28], v[25:26], v[23:24]
	v_fma_f64 v[3:4], -v[3:4], v[27:28], v[25:26]
	s_delay_alu instid0(VALU_DEP_1)
	v_div_fmas_f64 v[3:4], v[3:4], v[23:24], v[27:28]
	ds_load_2addr_b32 v[23:24], v8 offset0:7 offset1:10
	v_div_fixup_f64 v[3:4], v[3:4], s[30:31], v[1:2]
	s_and_saveexec_b32 s2, s0
	s_cbranch_execz .LBB21_45
; %bb.44:                               ;   in Loop: Header=BB21_40 Depth=2
	s_waitcnt lgkmcnt(0)
	v_ashrrev_i32_e32 v26, 31, v24
	v_mov_b32_e32 v25, v24
	s_delay_alu instid0(VALU_DEP_1) | instskip(NEXT) | instid1(VALU_DEP_1)
	v_lshlrev_b64 v[25:26], 3, v[25:26]
	v_add_co_u32 v25, vcc_lo, s38, v25
	s_delay_alu instid0(VALU_DEP_2)
	v_add_co_ci_u32_e32 v26, vcc_lo, s39, v26, vcc_lo
	global_load_b64 v[27:28], v[25:26], off
	s_waitcnt vmcnt(0)
	v_mul_f64 v[27:28], v[3:4], v[27:28]
	global_store_b64 v[25:26], v[27:28], off
.LBB21_45:                              ;   in Loop: Header=BB21_40 Depth=2
	s_or_b32 exec_lo, exec_lo, s2
	s_waitcnt lgkmcnt(0)
	v_add_nc_u32_e32 v25, v23, v0
	s_mov_b32 s3, exec_lo
	s_delay_alu instid0(VALU_DEP_1)
	v_cmpx_lt_i32_e64 v25, v24
	s_cbranch_execz .LBB21_48
; %bb.46:                               ;   in Loop: Header=BB21_40 Depth=2
	v_ashrrev_i32_e32 v26, 31, v25
	s_mov_b32 s10, 0
	s_delay_alu instid0(VALU_DEP_1) | instskip(NEXT) | instid1(VALU_DEP_1)
	v_lshlrev_b64 v[26:27], 3, v[25:26]
	v_add_co_u32 v7, vcc_lo, s36, v26
	s_delay_alu instid0(VALU_DEP_2)
	v_add_co_ci_u32_e32 v23, vcc_lo, s37, v27, vcc_lo
	.p2align	6
.LBB21_47:                              ;   Parent Loop BB21_7 Depth=1
                                        ;     Parent Loop BB21_40 Depth=2
                                        ; =>    This Inner Loop Header: Depth=3
	s_delay_alu instid0(VALU_DEP_2) | instskip(NEXT) | instid1(VALU_DEP_2)
	v_add_co_u32 v26, vcc_lo, s63, v7
	v_add_co_ci_u32_e32 v27, vcc_lo, s64, v23, vcc_lo
	v_add_co_u32 v30, vcc_lo, s65, v7
	v_add_co_ci_u32_e32 v31, vcc_lo, s66, v23, vcc_lo
	global_load_b64 v[28:29], v[26:27], off
	v_add_nc_u32_e32 v25, s13, v25
	v_add_co_u32 v7, s2, v7, s75
	s_delay_alu instid0(VALU_DEP_1) | instskip(NEXT) | instid1(VALU_DEP_3)
	v_add_co_ci_u32_e64 v23, s2, 0, v23, s2
	v_cmp_ge_i32_e32 vcc_lo, v25, v24
	s_or_b32 s10, vcc_lo, s10
	s_waitcnt vmcnt(0)
	v_mul_f64 v[28:29], v[3:4], v[28:29]
	global_store_b64 v[26:27], v[28:29], off
	global_load_b64 v[26:27], v[30:31], off
	s_waitcnt vmcnt(0)
	v_mul_f64 v[26:27], v[3:4], v[26:27]
	global_store_b64 v[30:31], v[26:27], off
	s_and_not1_b32 exec_lo, exec_lo, s10
	s_cbranch_execnz .LBB21_47
.LBB21_48:                              ;   in Loop: Header=BB21_40 Depth=2
	s_or_b32 exec_lo, exec_lo, s3
.LBB21_49:                              ;   in Loop: Header=BB21_40 Depth=2
	s_mov_b32 s2, 0
.LBB21_50:                              ;   in Loop: Header=BB21_40 Depth=2
	s_delay_alu instid0(SALU_CYCLE_1)
	s_and_not1_b32 vcc_lo, exec_lo, s2
	s_cbranch_vccnz .LBB21_57
; %bb.51:                               ;   in Loop: Header=BB21_40 Depth=2
	v_div_scale_f64 v[3:4], null, s[34:35], s[34:35], v[1:2]
	s_delay_alu instid0(VALU_DEP_1) | instskip(SKIP_2) | instid1(VALU_DEP_1)
	v_rcp_f64_e32 v[23:24], v[3:4]
	s_waitcnt_depctr 0xfff
	v_fma_f64 v[25:26], -v[3:4], v[23:24], 1.0
	v_fma_f64 v[23:24], v[23:24], v[25:26], v[23:24]
	s_delay_alu instid0(VALU_DEP_1) | instskip(NEXT) | instid1(VALU_DEP_1)
	v_fma_f64 v[25:26], -v[3:4], v[23:24], 1.0
	v_fma_f64 v[23:24], v[23:24], v[25:26], v[23:24]
	v_div_scale_f64 v[25:26], vcc_lo, v[1:2], s[34:35], v[1:2]
	s_delay_alu instid0(VALU_DEP_1) | instskip(NEXT) | instid1(VALU_DEP_1)
	v_mul_f64 v[27:28], v[25:26], v[23:24]
	v_fma_f64 v[3:4], -v[3:4], v[27:28], v[25:26]
	s_delay_alu instid0(VALU_DEP_1) | instskip(NEXT) | instid1(VALU_DEP_1)
	v_div_fmas_f64 v[3:4], v[3:4], v[23:24], v[27:28]
	v_div_fixup_f64 v[1:2], v[3:4], s[34:35], v[1:2]
	ds_load_2addr_b32 v[3:4], v8 offset0:7 offset1:10
	s_and_saveexec_b32 s2, s0
	s_cbranch_execz .LBB21_53
; %bb.52:                               ;   in Loop: Header=BB21_40 Depth=2
	s_waitcnt lgkmcnt(0)
	v_ashrrev_i32_e32 v24, 31, v4
	v_mov_b32_e32 v23, v4
	s_delay_alu instid0(VALU_DEP_1) | instskip(NEXT) | instid1(VALU_DEP_1)
	v_lshlrev_b64 v[23:24], 3, v[23:24]
	v_add_co_u32 v23, vcc_lo, s38, v23
	s_delay_alu instid0(VALU_DEP_2)
	v_add_co_ci_u32_e32 v24, vcc_lo, s39, v24, vcc_lo
	global_load_b64 v[25:26], v[23:24], off
	s_waitcnt vmcnt(0)
	v_mul_f64 v[25:26], v[1:2], v[25:26]
	global_store_b64 v[23:24], v[25:26], off
.LBB21_53:                              ;   in Loop: Header=BB21_40 Depth=2
	s_or_b32 exec_lo, exec_lo, s2
	s_waitcnt lgkmcnt(0)
	v_add_nc_u32_e32 v23, v3, v0
	s_mov_b32 s3, exec_lo
	s_delay_alu instid0(VALU_DEP_1)
	v_cmpx_lt_i32_e64 v23, v4
	s_cbranch_execz .LBB21_56
; %bb.54:                               ;   in Loop: Header=BB21_40 Depth=2
	v_ashrrev_i32_e32 v24, 31, v23
	s_mov_b32 s10, 0
	s_delay_alu instid0(VALU_DEP_1) | instskip(NEXT) | instid1(VALU_DEP_1)
	v_lshlrev_b64 v[24:25], 3, v[23:24]
	v_add_co_u32 v3, vcc_lo, s36, v24
	s_delay_alu instid0(VALU_DEP_2)
	v_add_co_ci_u32_e32 v7, vcc_lo, s37, v25, vcc_lo
	.p2align	6
.LBB21_55:                              ;   Parent Loop BB21_7 Depth=1
                                        ;     Parent Loop BB21_40 Depth=2
                                        ; =>    This Inner Loop Header: Depth=3
	s_delay_alu instid0(VALU_DEP_2) | instskip(NEXT) | instid1(VALU_DEP_2)
	v_add_co_u32 v24, vcc_lo, s63, v3
	v_add_co_ci_u32_e32 v25, vcc_lo, s64, v7, vcc_lo
	v_add_co_u32 v28, vcc_lo, s65, v3
	v_add_co_ci_u32_e32 v29, vcc_lo, s66, v7, vcc_lo
	global_load_b64 v[26:27], v[24:25], off
	v_add_nc_u32_e32 v23, s13, v23
	v_add_co_u32 v3, s2, v3, s75
	s_delay_alu instid0(VALU_DEP_1) | instskip(NEXT) | instid1(VALU_DEP_3)
	v_add_co_ci_u32_e64 v7, s2, 0, v7, s2
	v_cmp_ge_i32_e32 vcc_lo, v23, v4
	s_or_b32 s10, vcc_lo, s10
	s_waitcnt vmcnt(0)
	v_mul_f64 v[26:27], v[1:2], v[26:27]
	global_store_b64 v[24:25], v[26:27], off
	global_load_b64 v[24:25], v[28:29], off
	s_waitcnt vmcnt(0)
	v_mul_f64 v[24:25], v[1:2], v[24:25]
	global_store_b64 v[28:29], v[24:25], off
	s_and_not1_b32 exec_lo, exec_lo, s10
	s_cbranch_execnz .LBB21_55
.LBB21_56:                              ;   in Loop: Header=BB21_40 Depth=2
	s_or_b32 exec_lo, exec_lo, s3
.LBB21_57:                              ;   in Loop: Header=BB21_40 Depth=2
	s_waitcnt_vscnt null, 0x0
	s_barrier
	buffer_gl0_inv
	ds_load_b64 v[25:26], v8 offset:32
	ds_load_b32 v23, v8 offset:16
	s_waitcnt lgkmcnt(1)
	v_cmp_gt_i32_e64 s2, s15, v26
	s_waitcnt lgkmcnt(0)
	v_cmp_lt_i32_e32 vcc_lo, v25, v23
	s_delay_alu instid0(VALU_DEP_2) | instskip(NEXT) | instid1(VALU_DEP_1)
	v_cndmask_b32_e64 v1, 0, 1, s2
	v_cmp_ne_u32_e64 s3, 1, v1
	s_cbranch_vccnz .LBB21_143
; %bb.58:                               ;   in Loop: Header=BB21_40 Depth=2
	v_dual_mov_b32 v30, v22 :: v_dual_mov_b32 v29, v21
	v_dual_mov_b32 v28, v20 :: v_dual_mov_b32 v27, v19
	;; [unrolled: 1-line block ×4, first 2 shown]
	s_and_b32 vcc_lo, exec_lo, s3
	s_cbranch_vccz .LBB21_62
.LBB21_59:                              ;   in Loop: Header=BB21_40 Depth=2
	s_cbranch_execz .LBB21_146
	s_branch .LBB21_228
.LBB21_60:                              ;   in Loop: Header=BB21_62 Depth=3
	s_or_b32 exec_lo, exec_lo, s21
	s_waitcnt lgkmcnt(0)
	s_waitcnt_vscnt null, 0x0
	s_barrier
	buffer_gl0_inv
	ds_load_b32 v31, v8 offset:16
.LBB21_61:                              ;   in Loop: Header=BB21_62 Depth=3
	ds_load_b64 v[35:36], v8 offset:32
	s_waitcnt lgkmcnt(0)
	v_cmp_le_i32_e32 vcc_lo, v31, v35
	v_cmp_gt_i32_e64 s3, s15, v36
	s_delay_alu instid0(VALU_DEP_1) | instskip(NEXT) | instid1(SALU_CYCLE_1)
	s_and_b32 s3, vcc_lo, s3
	s_and_not1_b32 vcc_lo, exec_lo, s3
	s_cbranch_vccnz .LBB21_59
.LBB21_62:                              ;   Parent Loop BB21_7 Depth=1
                                        ;     Parent Loop BB21_40 Depth=2
                                        ; =>    This Loop Header: Depth=3
                                        ;         Child Loop BB21_70 Depth 4
                                        ;         Child Loop BB21_89 Depth 4
	;; [unrolled: 1-line block ×3, first 2 shown]
                                        ;           Child Loop BB21_140 Depth 5
	s_and_saveexec_b32 s10, s0
	s_cbranch_execz .LBB21_135
; %bb.63:                               ;   in Loop: Header=BB21_62 Depth=3
	v_cmp_lt_i32_e32 vcc_lo, v31, v35
	s_mov_b32 s3, 0
	s_cbranch_vccnz .LBB21_67
; %bb.64:                               ;   in Loop: Header=BB21_62 Depth=3
	v_ashrrev_i32_e32 v32, 31, v31
	v_mov_b32_e32 v2, v31
	s_mov_b32 s21, -1
	s_delay_alu instid0(VALU_DEP_2)
	v_mov_b32_e32 v3, v32
	v_mov_b32_e32 v1, v31
	s_cbranch_execz .LBB21_68
; %bb.65:                               ;   in Loop: Header=BB21_62 Depth=3
	s_and_b32 vcc_lo, exec_lo, s21
	s_cbranch_vccz .LBB21_73
.LBB21_66:                              ;   in Loop: Header=BB21_62 Depth=3
	ds_store_2addr_b32 v8, v1, v31 offset0:5 offset1:7
	s_cbranch_execz .LBB21_74
	s_branch .LBB21_75
.LBB21_67:                              ;   in Loop: Header=BB21_62 Depth=3
	s_mov_b32 s21, 0
                                        ; implicit-def: $vgpr2_vgpr3
	v_mov_b32_e32 v1, v31
.LBB21_68:                              ;   in Loop: Header=BB21_62 Depth=3
	v_ashrrev_i32_e32 v32, 31, v31
	v_mov_b32_e32 v7, v31
	s_delay_alu instid0(VALU_DEP_2) | instskip(NEXT) | instid1(VALU_DEP_1)
	v_lshlrev_b64 v[1:2], 3, v[31:32]
	v_add_co_u32 v3, vcc_lo, s92, v1
	s_delay_alu instid0(VALU_DEP_2)
	v_add_co_ci_u32_e32 v4, vcc_lo, s93, v2, vcc_lo
	v_add_co_u32 v1, vcc_lo, s96, v1
	v_add_co_ci_u32_e32 v2, vcc_lo, s97, v2, vcc_lo
	s_branch .LBB21_70
	.p2align	6
.LBB21_69:                              ;   in Loop: Header=BB21_70 Depth=4
	v_add_nc_u32_e32 v7, 1, v24
	v_add_co_u32 v3, vcc_lo, v27, 8
	v_add_co_ci_u32_e32 v4, vcc_lo, 0, v28, vcc_lo
	v_add_co_u32 v1, vcc_lo, v1, 8
	v_add_co_ci_u32_e32 v2, vcc_lo, 0, v2, vcc_lo
	v_cmp_ge_i32_e64 s21, v7, v35
	s_mov_b32 s3, 0
	s_delay_alu instid0(VALU_DEP_1)
	s_and_not1_b32 vcc_lo, exec_lo, s21
	s_cbranch_vccz .LBB21_72
.LBB21_70:                              ;   Parent Loop BB21_7 Depth=1
                                        ;     Parent Loop BB21_40 Depth=2
                                        ;       Parent Loop BB21_62 Depth=3
                                        ; =>      This Inner Loop Header: Depth=4
	global_load_b128 v[37:40], v[1:2], off
	v_dual_mov_b32 v28, v4 :: v_dual_mov_b32 v27, v3
	global_load_b64 v[3:4], v[3:4], off
	v_mov_b32_e32 v24, v7
	s_waitcnt vmcnt(1)
	v_mul_f64 v[29:30], v[37:38], v[39:40]
	s_waitcnt vmcnt(0)
	v_mul_f64 v[3:4], v[3:4], v[3:4]
	s_delay_alu instid0(VALU_DEP_2) | instskip(NEXT) | instid1(VALU_DEP_1)
	v_mul_f64 v[29:30], v[5:6], |v[29:30]|
	v_cmp_le_f64_e64 s3, |v[3:4]|, v[29:30]
	s_delay_alu instid0(VALU_DEP_1)
	s_and_b32 vcc_lo, exec_lo, s3
	s_cbranch_vccz .LBB21_69
; %bb.71:                               ;   in Loop: Header=BB21_62 Depth=3
	s_mov_b32 s3, -1
                                        ; implicit-def: $vgpr7
                                        ; implicit-def: $vgpr3_vgpr4
                                        ; implicit-def: $vgpr1_vgpr2
.LBB21_72:                              ;   in Loop: Header=BB21_62 Depth=3
	v_dual_mov_b32 v29, v31 :: v_dual_mov_b32 v30, v32
	v_mov_b32_e32 v1, v35
	v_dual_mov_b32 v2, v31 :: v_dual_mov_b32 v3, v32
	s_xor_b32 s21, s3, -1
	s_mov_b32 s3, -1
	s_and_b32 vcc_lo, exec_lo, s21
	s_cbranch_vccnz .LBB21_66
.LBB21_73:                              ;   in Loop: Header=BB21_62 Depth=3
                                        ; implicit-def: $vgpr1
                                        ; implicit-def: $vgpr2_vgpr3
	s_and_not1_b32 vcc_lo, exec_lo, s3
	s_cbranch_vccnz .LBB21_75
.LBB21_74:                              ;   in Loop: Header=BB21_62 Depth=3
	v_dual_mov_b32 v7, v8 :: v_dual_mov_b32 v2, v29
	v_mov_b32_e32 v3, v30
	v_mov_b32_e32 v1, v24
	ds_store_2addr_b32 v8, v24, v31 offset0:5 offset1:7
	global_store_b64 v[27:28], v[7:8], off
.LBB21_75:                              ;   in Loop: Header=BB21_62 Depth=3
	v_lshlrev_b64 v[34:35], 3, v[2:3]
	v_add_nc_u32_e32 v2, 1, v31
	s_mov_b32 s3, exec_lo
	s_delay_alu instid0(VALU_DEP_2) | instskip(NEXT) | instid1(VALU_DEP_3)
	v_add_co_u32 v32, vcc_lo, s38, v34
	v_add_co_ci_u32_e32 v33, vcc_lo, s39, v35, vcc_lo
	global_load_b64 v[42:43], v[32:33], off
	s_waitcnt vmcnt(0)
	ds_store_b64 v8, v[42:43]
	v_cmpx_ne_u32_e64 v1, v31
	s_xor_b32 s21, exec_lo, s3
	s_cbranch_execz .LBB21_132
; %bb.76:                               ;   in Loop: Header=BB21_62 Depth=3
	s_mov_b32 s3, exec_lo
	v_cmpx_ne_u32_e64 v1, v2
	s_xor_b32 s3, exec_lo, s3
	s_cbranch_execz .LBB21_104
; %bb.77:                               ;   in Loop: Header=BB21_62 Depth=3
	v_add_co_u32 v3, vcc_lo, s86, v34
	v_add_co_ci_u32_e32 v4, vcc_lo, s87, v35, vcc_lo
	s_mov_b32 s60, exec_lo
	global_load_b64 v[34:35], v[32:33], off offset:8
	global_load_b64 v[37:38], v[3:4], off
	s_waitcnt vmcnt(1)
	v_add_f64 v[34:35], v[34:35], -v[42:43]
	s_waitcnt vmcnt(0)
	v_add_f64 v[39:40], v[37:38], v[37:38]
	s_delay_alu instid0(VALU_DEP_1) | instskip(SKIP_1) | instid1(VALU_DEP_2)
	v_div_scale_f64 v[44:45], null, v[39:40], v[39:40], v[34:35]
	v_div_scale_f64 v[50:51], vcc_lo, v[34:35], v[39:40], v[34:35]
	v_rcp_f64_e32 v[46:47], v[44:45]
	s_waitcnt_depctr 0xfff
	v_fma_f64 v[48:49], -v[44:45], v[46:47], 1.0
	s_delay_alu instid0(VALU_DEP_1) | instskip(NEXT) | instid1(VALU_DEP_1)
	v_fma_f64 v[46:47], v[46:47], v[48:49], v[46:47]
	v_fma_f64 v[48:49], -v[44:45], v[46:47], 1.0
	s_delay_alu instid0(VALU_DEP_1) | instskip(NEXT) | instid1(VALU_DEP_1)
	v_fma_f64 v[46:47], v[46:47], v[48:49], v[46:47]
	v_mul_f64 v[48:49], v[50:51], v[46:47]
	s_delay_alu instid0(VALU_DEP_1) | instskip(NEXT) | instid1(VALU_DEP_1)
	v_fma_f64 v[44:45], -v[44:45], v[48:49], v[50:51]
	v_div_fmas_f64 v[44:45], v[44:45], v[46:47], v[48:49]
	s_delay_alu instid0(VALU_DEP_1) | instskip(NEXT) | instid1(VALU_DEP_1)
	v_div_fixup_f64 v[34:35], v[44:45], v[39:40], v[34:35]
	v_fma_f64 v[39:40], v[34:35], v[34:35], 1.0
	s_delay_alu instid0(VALU_DEP_1) | instskip(SKIP_1) | instid1(VALU_DEP_1)
	v_cmp_gt_f64_e32 vcc_lo, 0x10000000, v[39:40]
	v_cndmask_b32_e64 v2, 0, 1, vcc_lo
	v_lshlrev_b32_e32 v2, 8, v2
	s_delay_alu instid0(VALU_DEP_1) | instskip(SKIP_1) | instid1(VALU_DEP_2)
	v_ldexp_f64 v[39:40], v[39:40], v2
	v_cndmask_b32_e64 v2, 0, 0xffffff80, vcc_lo
	v_rsq_f64_e32 v[44:45], v[39:40]
	v_cmp_class_f64_e64 vcc_lo, v[39:40], 0x260
	s_waitcnt_depctr 0xfff
	v_mul_f64 v[46:47], v[39:40], v[44:45]
	v_mul_f64 v[44:45], v[44:45], 0.5
	s_delay_alu instid0(VALU_DEP_1) | instskip(NEXT) | instid1(VALU_DEP_1)
	v_fma_f64 v[48:49], -v[44:45], v[46:47], 0.5
	v_fma_f64 v[46:47], v[46:47], v[48:49], v[46:47]
	v_fma_f64 v[44:45], v[44:45], v[48:49], v[44:45]
	s_delay_alu instid0(VALU_DEP_2) | instskip(NEXT) | instid1(VALU_DEP_1)
	v_fma_f64 v[48:49], -v[46:47], v[46:47], v[39:40]
	v_fma_f64 v[46:47], v[48:49], v[44:45], v[46:47]
	s_delay_alu instid0(VALU_DEP_1) | instskip(NEXT) | instid1(VALU_DEP_1)
	v_fma_f64 v[48:49], -v[46:47], v[46:47], v[39:40]
	v_fma_f64 v[44:45], v[48:49], v[44:45], v[46:47]
	s_delay_alu instid0(VALU_DEP_1) | instskip(NEXT) | instid1(VALU_DEP_1)
	v_ldexp_f64 v[44:45], v[44:45], v2
	v_dual_cndmask_b32 v39, v44, v39 :: v_dual_cndmask_b32 v2, v45, v40
	v_cmp_nle_f64_e32 vcc_lo, 0, v[34:35]
	s_delay_alu instid0(VALU_DEP_2) | instskip(SKIP_1) | instid1(VALU_DEP_1)
	v_and_b32_e32 v7, 0x7fffffff, v2
	v_or_b32_e32 v2, 0x80000000, v2
	v_cndmask_b32_e32 v40, v7, v2, vcc_lo
	v_ashrrev_i32_e32 v2, 31, v1
	v_mov_b32_e32 v7, v8
	s_delay_alu instid0(VALU_DEP_3) | instskip(NEXT) | instid1(VALU_DEP_3)
	v_add_f64 v[34:35], v[34:35], v[39:40]
	v_lshlrev_b64 v[44:45], 3, v[1:2]
	v_add_nc_u32_e32 v2, 1, v36
	s_delay_alu instid0(VALU_DEP_2) | instskip(NEXT) | instid1(VALU_DEP_3)
	v_add_co_u32 v40, vcc_lo, s38, v44
	v_add_co_ci_u32_e32 v41, vcc_lo, s39, v45, vcc_lo
	global_load_b64 v[46:47], v[40:41], off
	ds_store_b32 v8, v2 offset:36
	ds_store_b64 v8, v[7:8]
	v_div_scale_f64 v[48:49], null, v[34:35], v[34:35], v[37:38]
	s_delay_alu instid0(VALU_DEP_1) | instskip(SKIP_2) | instid1(VALU_DEP_1)
	v_rcp_f64_e32 v[50:51], v[48:49]
	s_waitcnt_depctr 0xfff
	v_fma_f64 v[52:53], -v[48:49], v[50:51], 1.0
	v_fma_f64 v[50:51], v[50:51], v[52:53], v[50:51]
	s_delay_alu instid0(VALU_DEP_1) | instskip(NEXT) | instid1(VALU_DEP_1)
	v_fma_f64 v[52:53], -v[48:49], v[50:51], 1.0
	v_fma_f64 v[50:51], v[50:51], v[52:53], v[50:51]
	v_div_scale_f64 v[52:53], vcc_lo, v[37:38], v[34:35], v[37:38]
	s_delay_alu instid0(VALU_DEP_1) | instskip(NEXT) | instid1(VALU_DEP_1)
	v_mul_f64 v[62:63], v[52:53], v[50:51]
	v_fma_f64 v[48:49], -v[48:49], v[62:63], v[52:53]
	s_delay_alu instid0(VALU_DEP_1) | instskip(SKIP_2) | instid1(VALU_DEP_2)
	v_div_fmas_f64 v[48:49], v[48:49], v[50:51], v[62:63]
	s_waitcnt vmcnt(0)
	v_add_f64 v[50:51], v[46:47], -v[42:43]
	v_div_fixup_f64 v[34:35], v[48:49], v[34:35], v[37:38]
	v_mov_b32_e32 v36, 0
	v_mov_b32_e32 v37, 0
	s_delay_alu instid0(VALU_DEP_3)
	v_add_f64 v[34:35], v[50:51], v[34:35]
	v_cmpx_gt_i32_e64 v1, v31
	s_cbranch_execz .LBB21_103
; %bb.78:                               ;   in Loop: Header=BB21_62 Depth=3
	v_add_co_u32 v36, vcc_lo, s90, v44
	v_add_co_ci_u32_e32 v37, vcc_lo, s91, v45, vcc_lo
	v_mov_b32_e32 v38, 0
	v_dual_mov_b32 v39, 0x3ff00000 :: v_dual_mov_b32 v50, 0
	global_load_b64 v[42:43], v[36:37], off
	v_mov_b32_e32 v51, 0
	s_mov_b32 s52, exec_lo
	s_waitcnt vmcnt(0)
	v_cmpx_neq_f64_e32 0, v[42:43]
	s_cbranch_execz .LBB21_86
; %bb.79:                               ;   in Loop: Header=BB21_62 Depth=3
	v_mov_b32_e32 v50, 0
	v_dual_mov_b32 v51, 0x3ff00000 :: v_dual_mov_b32 v38, 0
	v_mov_b32_e32 v39, 0
	s_mov_b32 s53, exec_lo
	v_cmpx_neq_f64_e32 0, v[34:35]
	s_cbranch_execz .LBB21_85
; %bb.80:                               ;   in Loop: Header=BB21_62 Depth=3
	v_cmp_ngt_f64_e64 s54, |v[42:43]|, |v[34:35]|
                                        ; implicit-def: $vgpr50_vgpr51
                                        ; implicit-def: $vgpr38_vgpr39
	s_delay_alu instid0(VALU_DEP_1) | instskip(NEXT) | instid1(SALU_CYCLE_1)
	s_and_saveexec_b32 s55, s54
	s_xor_b32 s54, exec_lo, s55
	s_cbranch_execz .LBB21_82
; %bb.81:                               ;   in Loop: Header=BB21_62 Depth=3
	v_div_scale_f64 v[36:37], null, v[34:35], v[34:35], -v[42:43]
	v_div_scale_f64 v[50:51], vcc_lo, -v[42:43], v[34:35], -v[42:43]
	s_delay_alu instid0(VALU_DEP_2) | instskip(SKIP_2) | instid1(VALU_DEP_1)
	v_rcp_f64_e32 v[38:39], v[36:37]
	s_waitcnt_depctr 0xfff
	v_fma_f64 v[48:49], -v[36:37], v[38:39], 1.0
	v_fma_f64 v[38:39], v[38:39], v[48:49], v[38:39]
	s_delay_alu instid0(VALU_DEP_1) | instskip(NEXT) | instid1(VALU_DEP_1)
	v_fma_f64 v[48:49], -v[36:37], v[38:39], 1.0
	v_fma_f64 v[38:39], v[38:39], v[48:49], v[38:39]
	s_delay_alu instid0(VALU_DEP_1) | instskip(NEXT) | instid1(VALU_DEP_1)
	v_mul_f64 v[48:49], v[50:51], v[38:39]
	v_fma_f64 v[36:37], -v[36:37], v[48:49], v[50:51]
	s_delay_alu instid0(VALU_DEP_1) | instskip(NEXT) | instid1(VALU_DEP_1)
	v_div_fmas_f64 v[36:37], v[36:37], v[38:39], v[48:49]
	v_div_fixup_f64 v[34:35], v[36:37], v[34:35], -v[42:43]
	s_delay_alu instid0(VALU_DEP_1) | instskip(NEXT) | instid1(VALU_DEP_1)
	v_fma_f64 v[36:37], v[34:35], v[34:35], 1.0
	v_cmp_gt_f64_e32 vcc_lo, 0x10000000, v[36:37]
	v_cndmask_b32_e64 v2, 0, 1, vcc_lo
	s_delay_alu instid0(VALU_DEP_1) | instskip(NEXT) | instid1(VALU_DEP_1)
	v_lshlrev_b32_e32 v2, 8, v2
	v_ldexp_f64 v[36:37], v[36:37], v2
	v_cndmask_b32_e64 v2, 0, 0xffffff80, vcc_lo
	s_delay_alu instid0(VALU_DEP_2) | instskip(SKIP_4) | instid1(VALU_DEP_1)
	v_rsq_f64_e32 v[38:39], v[36:37]
	v_cmp_class_f64_e64 vcc_lo, v[36:37], 0x260
	s_waitcnt_depctr 0xfff
	v_mul_f64 v[48:49], v[36:37], v[38:39]
	v_mul_f64 v[38:39], v[38:39], 0.5
	v_fma_f64 v[50:51], -v[38:39], v[48:49], 0.5
	s_delay_alu instid0(VALU_DEP_1) | instskip(SKIP_1) | instid1(VALU_DEP_2)
	v_fma_f64 v[48:49], v[48:49], v[50:51], v[48:49]
	v_fma_f64 v[38:39], v[38:39], v[50:51], v[38:39]
	v_fma_f64 v[50:51], -v[48:49], v[48:49], v[36:37]
	s_delay_alu instid0(VALU_DEP_1) | instskip(NEXT) | instid1(VALU_DEP_1)
	v_fma_f64 v[48:49], v[50:51], v[38:39], v[48:49]
	v_fma_f64 v[50:51], -v[48:49], v[48:49], v[36:37]
	s_delay_alu instid0(VALU_DEP_1) | instskip(NEXT) | instid1(VALU_DEP_1)
	v_fma_f64 v[38:39], v[50:51], v[38:39], v[48:49]
	v_ldexp_f64 v[38:39], v[38:39], v2
	s_delay_alu instid0(VALU_DEP_1) | instskip(NEXT) | instid1(VALU_DEP_1)
	v_dual_cndmask_b32 v37, v39, v37 :: v_dual_cndmask_b32 v36, v38, v36
	v_div_scale_f64 v[38:39], null, v[36:37], v[36:37], 1.0
	s_delay_alu instid0(VALU_DEP_1) | instskip(SKIP_2) | instid1(VALU_DEP_1)
	v_rcp_f64_e32 v[48:49], v[38:39]
	s_waitcnt_depctr 0xfff
	v_fma_f64 v[50:51], -v[38:39], v[48:49], 1.0
	v_fma_f64 v[48:49], v[48:49], v[50:51], v[48:49]
	s_delay_alu instid0(VALU_DEP_1) | instskip(NEXT) | instid1(VALU_DEP_1)
	v_fma_f64 v[50:51], -v[38:39], v[48:49], 1.0
	v_fma_f64 v[48:49], v[48:49], v[50:51], v[48:49]
	v_div_scale_f64 v[50:51], vcc_lo, 1.0, v[36:37], 1.0
	s_delay_alu instid0(VALU_DEP_1) | instskip(NEXT) | instid1(VALU_DEP_1)
	v_mul_f64 v[52:53], v[50:51], v[48:49]
	v_fma_f64 v[38:39], -v[38:39], v[52:53], v[50:51]
	s_delay_alu instid0(VALU_DEP_1) | instskip(NEXT) | instid1(VALU_DEP_1)
	v_div_fmas_f64 v[38:39], v[38:39], v[48:49], v[52:53]
	v_div_fixup_f64 v[38:39], v[38:39], v[36:37], 1.0
	s_delay_alu instid0(VALU_DEP_1)
	v_mul_f64 v[50:51], v[34:35], v[38:39]
                                        ; implicit-def: $vgpr34_vgpr35
.LBB21_82:                              ;   in Loop: Header=BB21_62 Depth=3
	s_and_not1_saveexec_b32 s54, s54
	s_cbranch_execz .LBB21_84
; %bb.83:                               ;   in Loop: Header=BB21_62 Depth=3
	v_div_scale_f64 v[36:37], null, v[42:43], v[42:43], -v[34:35]
	v_div_scale_f64 v[50:51], vcc_lo, -v[34:35], v[42:43], -v[34:35]
	s_delay_alu instid0(VALU_DEP_2) | instskip(SKIP_2) | instid1(VALU_DEP_1)
	v_rcp_f64_e32 v[38:39], v[36:37]
	s_waitcnt_depctr 0xfff
	v_fma_f64 v[48:49], -v[36:37], v[38:39], 1.0
	v_fma_f64 v[38:39], v[38:39], v[48:49], v[38:39]
	s_delay_alu instid0(VALU_DEP_1) | instskip(NEXT) | instid1(VALU_DEP_1)
	v_fma_f64 v[48:49], -v[36:37], v[38:39], 1.0
	v_fma_f64 v[38:39], v[38:39], v[48:49], v[38:39]
	s_delay_alu instid0(VALU_DEP_1) | instskip(NEXT) | instid1(VALU_DEP_1)
	v_mul_f64 v[48:49], v[50:51], v[38:39]
	v_fma_f64 v[36:37], -v[36:37], v[48:49], v[50:51]
	s_delay_alu instid0(VALU_DEP_1) | instskip(NEXT) | instid1(VALU_DEP_1)
	v_div_fmas_f64 v[36:37], v[36:37], v[38:39], v[48:49]
	v_div_fixup_f64 v[34:35], v[36:37], v[42:43], -v[34:35]
	s_delay_alu instid0(VALU_DEP_1) | instskip(NEXT) | instid1(VALU_DEP_1)
	v_fma_f64 v[36:37], v[34:35], v[34:35], 1.0
	v_cmp_gt_f64_e32 vcc_lo, 0x10000000, v[36:37]
	v_cndmask_b32_e64 v2, 0, 1, vcc_lo
	s_delay_alu instid0(VALU_DEP_1) | instskip(NEXT) | instid1(VALU_DEP_1)
	v_lshlrev_b32_e32 v2, 8, v2
	v_ldexp_f64 v[36:37], v[36:37], v2
	v_cndmask_b32_e64 v2, 0, 0xffffff80, vcc_lo
	s_delay_alu instid0(VALU_DEP_2) | instskip(SKIP_4) | instid1(VALU_DEP_1)
	v_rsq_f64_e32 v[38:39], v[36:37]
	v_cmp_class_f64_e64 vcc_lo, v[36:37], 0x260
	s_waitcnt_depctr 0xfff
	v_mul_f64 v[48:49], v[36:37], v[38:39]
	v_mul_f64 v[38:39], v[38:39], 0.5
	v_fma_f64 v[50:51], -v[38:39], v[48:49], 0.5
	s_delay_alu instid0(VALU_DEP_1) | instskip(SKIP_1) | instid1(VALU_DEP_2)
	v_fma_f64 v[48:49], v[48:49], v[50:51], v[48:49]
	v_fma_f64 v[38:39], v[38:39], v[50:51], v[38:39]
	v_fma_f64 v[50:51], -v[48:49], v[48:49], v[36:37]
	s_delay_alu instid0(VALU_DEP_1) | instskip(NEXT) | instid1(VALU_DEP_1)
	v_fma_f64 v[48:49], v[50:51], v[38:39], v[48:49]
	v_fma_f64 v[50:51], -v[48:49], v[48:49], v[36:37]
	s_delay_alu instid0(VALU_DEP_1) | instskip(NEXT) | instid1(VALU_DEP_1)
	v_fma_f64 v[38:39], v[50:51], v[38:39], v[48:49]
	v_ldexp_f64 v[38:39], v[38:39], v2
	s_delay_alu instid0(VALU_DEP_1) | instskip(NEXT) | instid1(VALU_DEP_1)
	v_dual_cndmask_b32 v37, v39, v37 :: v_dual_cndmask_b32 v36, v38, v36
	v_div_scale_f64 v[38:39], null, v[36:37], v[36:37], 1.0
	s_delay_alu instid0(VALU_DEP_1) | instskip(SKIP_2) | instid1(VALU_DEP_1)
	v_rcp_f64_e32 v[48:49], v[38:39]
	s_waitcnt_depctr 0xfff
	v_fma_f64 v[50:51], -v[38:39], v[48:49], 1.0
	v_fma_f64 v[48:49], v[48:49], v[50:51], v[48:49]
	s_delay_alu instid0(VALU_DEP_1) | instskip(NEXT) | instid1(VALU_DEP_1)
	v_fma_f64 v[50:51], -v[38:39], v[48:49], 1.0
	v_fma_f64 v[48:49], v[48:49], v[50:51], v[48:49]
	v_div_scale_f64 v[50:51], vcc_lo, 1.0, v[36:37], 1.0
	s_delay_alu instid0(VALU_DEP_1) | instskip(NEXT) | instid1(VALU_DEP_1)
	v_mul_f64 v[52:53], v[50:51], v[48:49]
	v_fma_f64 v[38:39], -v[38:39], v[52:53], v[50:51]
	s_delay_alu instid0(VALU_DEP_1) | instskip(NEXT) | instid1(VALU_DEP_1)
	v_div_fmas_f64 v[38:39], v[38:39], v[48:49], v[52:53]
	v_div_fixup_f64 v[50:51], v[38:39], v[36:37], 1.0
	s_delay_alu instid0(VALU_DEP_1)
	v_mul_f64 v[38:39], v[34:35], v[50:51]
.LBB21_84:                              ;   in Loop: Header=BB21_62 Depth=3
	s_or_b32 exec_lo, exec_lo, s54
.LBB21_85:                              ;   in Loop: Header=BB21_62 Depth=3
	s_delay_alu instid0(SALU_CYCLE_1)
	s_or_b32 exec_lo, exec_lo, s53
.LBB21_86:                              ;   in Loop: Header=BB21_62 Depth=3
	s_delay_alu instid0(SALU_CYCLE_1)
	s_or_b32 exec_lo, exec_lo, s52
	global_load_b64 v[34:35], v[40:41], off offset:-8
	v_add_f64 v[36:37], v[38:39], v[38:39]
	s_mov_b32 s61, exec_lo
	s_waitcnt vmcnt(0)
	v_add_f64 v[34:35], v[34:35], -v[46:47]
	s_delay_alu instid0(VALU_DEP_1) | instskip(NEXT) | instid1(VALU_DEP_1)
	v_mul_f64 v[34:35], v[50:51], v[34:35]
	v_fma_f64 v[34:35], v[42:43], v[36:37], -v[34:35]
	s_delay_alu instid0(VALU_DEP_1)
	v_mul_f64 v[36:37], v[34:35], -v[50:51]
	v_fma_f64 v[46:47], v[34:35], -v[50:51], v[46:47]
	v_fma_f64 v[34:35], v[38:39], v[34:35], -v[42:43]
	v_add_co_u32 v43, vcc_lo, s42, v44
	v_add_co_ci_u32_e32 v44, vcc_lo, s43, v45, vcc_lo
	v_add_nc_u32_e32 v42, -1, v1
	s_delay_alu instid0(VALU_DEP_3) | instskip(NEXT) | instid1(VALU_DEP_3)
	v_add_co_u32 v48, vcc_lo, v43, s44
	v_add_co_ci_u32_e32 v49, vcc_lo, s45, v44, vcc_lo
	ds_store_b64 v8, v[36:37]
	global_store_b64 v[40:41], v[46:47], off
	s_clause 0x1
	global_store_b64 v[43:44], v[38:39], off
	global_store_b64 v[48:49], v[50:51], off offset:-8
	v_cmpx_gt_i32_e64 v42, v31
	s_cbranch_execz .LBB21_102
; %bb.87:                               ;   in Loop: Header=BB21_62 Depth=3
	v_ashrrev_i32_e32 v43, 31, v42
	v_xor_b32_e32 v51, 0x80000000, v51
	s_mov_b32 s103, -1
	s_mov_b32 s104, 0
	s_mov_b64 s[52:53], s[48:49]
	v_lshlrev_b64 v[40:41], 3, v[42:43]
	s_mov_b64 s[54:55], s[38:39]
	s_mov_b64 s[56:57], s[46:47]
	;; [unrolled: 1-line block ×3, first 2 shown]
	s_branch .LBB21_89
.LBB21_88:                              ;   in Loop: Header=BB21_89 Depth=4
	v_add_co_u32 v62, vcc_lo, s54, v40
	v_add_co_ci_u32_e32 v63, vcc_lo, s55, v41, vcc_lo
	v_mul_f64 v[38:39], v[38:39], v[42:43]
	v_add_f64 v[42:43], v[52:53], v[52:53]
	v_xor_b32_e32 v51, 0x80000000, v49
	global_load_b128 v[44:47], v[62:63], off offset:-8
	v_mov_b32_e32 v50, v48
	s_waitcnt vmcnt(0)
	v_add_f64 v[34:35], v[46:47], -v[36:37]
	s_delay_alu instid0(VALU_DEP_1) | instskip(NEXT) | instid1(VALU_DEP_1)
	v_add_f64 v[36:37], v[44:45], -v[34:35]
	v_mul_f64 v[36:37], v[48:49], v[36:37]
	s_delay_alu instid0(VALU_DEP_1) | instskip(NEXT) | instid1(VALU_DEP_1)
	v_fma_f64 v[42:43], v[38:39], v[42:43], -v[36:37]
	v_fma_f64 v[44:45], v[42:43], -v[48:49], v[34:35]
	v_mul_f64 v[36:37], v[42:43], -v[48:49]
	v_fma_f64 v[34:35], v[52:53], v[42:43], -v[38:39]
	v_add_co_u32 v42, vcc_lo, s58, v40
	v_add_co_ci_u32_e32 v43, vcc_lo, s59, v41, vcc_lo
	s_add_u32 s58, s58, -8
	v_add_co_u32 v46, vcc_lo, s56, v40
	s_addc_u32 s59, s59, -1
	s_add_u32 s56, s56, -8
	v_add_co_ci_u32_e32 v47, vcc_lo, s57, v41, vcc_lo
	s_addc_u32 s57, s57, -1
	s_add_i32 s103, s103, -1
	v_mov_b32_e32 v38, v52
	v_dual_mov_b32 v39, v53 :: v_dual_add_nc_u32 v2, s103, v1
	s_add_u32 s54, s54, -8
	s_addc_u32 s55, s55, -1
	s_add_u32 s52, s52, -8
	s_delay_alu instid0(VALU_DEP_1)
	v_cmp_le_i32_e32 vcc_lo, v2, v31
	s_addc_u32 s53, s53, -1
	global_store_b64 v[62:63], v[44:45], off
	global_store_b64 v[42:43], v[52:53], off
	;; [unrolled: 1-line block ×3, first 2 shown]
	s_or_b32 s104, vcc_lo, s104
	s_delay_alu instid0(SALU_CYCLE_1)
	s_and_not1_b32 exec_lo, exec_lo, s104
	s_cbranch_execz .LBB21_101
.LBB21_89:                              ;   Parent Loop BB21_7 Depth=1
                                        ;     Parent Loop BB21_40 Depth=2
                                        ;       Parent Loop BB21_62 Depth=3
                                        ; =>      This Inner Loop Header: Depth=4
	s_delay_alu instid0(VALU_DEP_1)
	v_add_co_u32 v44, vcc_lo, s52, v40
	v_add_co_ci_u32_e32 v45, vcc_lo, s53, v41, vcc_lo
	v_mov_b32_e32 v52, 0
	v_dual_mov_b32 v53, 0x3ff00000 :: v_dual_mov_b32 v48, 0
	global_load_b64 v[42:43], v[44:45], off
	v_mov_b32_e32 v49, 0
	s_mov_b32 vcc_hi, exec_lo
	s_waitcnt vmcnt(0)
	v_mul_f64 v[46:47], v[50:51], v[42:43]
	s_delay_alu instid0(VALU_DEP_1)
	v_cmpx_neq_f64_e32 0, v[46:47]
	s_cbranch_execz .LBB21_99
; %bb.90:                               ;   in Loop: Header=BB21_89 Depth=4
	s_mov_b32 s73, exec_lo
                                        ; implicit-def: $vgpr48_vgpr49
                                        ; implicit-def: $vgpr52_vgpr53
	v_cmpx_neq_f64_e32 0, v[34:35]
	s_xor_b32 s73, exec_lo, s73
	s_cbranch_execz .LBB21_96
; %bb.91:                               ;   in Loop: Header=BB21_89 Depth=4
	v_cmp_ngt_f64_e64 s74, |v[46:47]|, |v[34:35]|
                                        ; implicit-def: $vgpr48_vgpr49
                                        ; implicit-def: $vgpr52_vgpr53
	s_delay_alu instid0(VALU_DEP_1) | instskip(NEXT) | instid1(SALU_CYCLE_1)
	s_and_saveexec_b32 vcc_lo, s74
	s_xor_b32 s74, exec_lo, vcc_lo
	s_cbranch_execz .LBB21_93
; %bb.92:                               ;   in Loop: Header=BB21_89 Depth=4
	v_div_scale_f64 v[48:49], null, v[34:35], v[34:35], -v[46:47]
	v_div_scale_f64 v[62:63], vcc_lo, -v[46:47], v[34:35], -v[46:47]
	s_delay_alu instid0(VALU_DEP_2) | instskip(SKIP_2) | instid1(VALU_DEP_1)
	v_rcp_f64_e32 v[50:51], v[48:49]
	s_waitcnt_depctr 0xfff
	v_fma_f64 v[52:53], -v[48:49], v[50:51], 1.0
	v_fma_f64 v[50:51], v[50:51], v[52:53], v[50:51]
	s_delay_alu instid0(VALU_DEP_1) | instskip(NEXT) | instid1(VALU_DEP_1)
	v_fma_f64 v[52:53], -v[48:49], v[50:51], 1.0
	v_fma_f64 v[50:51], v[50:51], v[52:53], v[50:51]
	s_delay_alu instid0(VALU_DEP_1) | instskip(NEXT) | instid1(VALU_DEP_1)
	v_mul_f64 v[52:53], v[62:63], v[50:51]
	v_fma_f64 v[48:49], -v[48:49], v[52:53], v[62:63]
	s_delay_alu instid0(VALU_DEP_1) | instskip(NEXT) | instid1(VALU_DEP_1)
	v_div_fmas_f64 v[48:49], v[48:49], v[50:51], v[52:53]
	v_div_fixup_f64 v[48:49], v[48:49], v[34:35], -v[46:47]
	s_delay_alu instid0(VALU_DEP_1) | instskip(NEXT) | instid1(VALU_DEP_1)
	v_fma_f64 v[50:51], v[48:49], v[48:49], 1.0
	v_cmp_gt_f64_e32 vcc_lo, 0x10000000, v[50:51]
	v_cndmask_b32_e64 v2, 0, 1, vcc_lo
	s_delay_alu instid0(VALU_DEP_1) | instskip(NEXT) | instid1(VALU_DEP_1)
	v_lshlrev_b32_e32 v2, 8, v2
	v_ldexp_f64 v[50:51], v[50:51], v2
	v_cndmask_b32_e64 v2, 0, 0xffffff80, vcc_lo
	s_delay_alu instid0(VALU_DEP_2) | instskip(SKIP_4) | instid1(VALU_DEP_1)
	v_rsq_f64_e32 v[52:53], v[50:51]
	v_cmp_class_f64_e64 vcc_lo, v[50:51], 0x260
	s_waitcnt_depctr 0xfff
	v_mul_f64 v[62:63], v[50:51], v[52:53]
	v_mul_f64 v[52:53], v[52:53], 0.5
	v_fma_f64 v[64:65], -v[52:53], v[62:63], 0.5
	s_delay_alu instid0(VALU_DEP_1) | instskip(SKIP_1) | instid1(VALU_DEP_2)
	v_fma_f64 v[62:63], v[62:63], v[64:65], v[62:63]
	v_fma_f64 v[52:53], v[52:53], v[64:65], v[52:53]
	v_fma_f64 v[64:65], -v[62:63], v[62:63], v[50:51]
	s_delay_alu instid0(VALU_DEP_1) | instskip(NEXT) | instid1(VALU_DEP_1)
	v_fma_f64 v[62:63], v[64:65], v[52:53], v[62:63]
	v_fma_f64 v[64:65], -v[62:63], v[62:63], v[50:51]
	s_delay_alu instid0(VALU_DEP_1) | instskip(NEXT) | instid1(VALU_DEP_1)
	v_fma_f64 v[52:53], v[64:65], v[52:53], v[62:63]
	v_ldexp_f64 v[52:53], v[52:53], v2
	s_delay_alu instid0(VALU_DEP_1) | instskip(NEXT) | instid1(VALU_DEP_1)
	v_dual_cndmask_b32 v51, v53, v51 :: v_dual_cndmask_b32 v50, v52, v50
	v_div_scale_f64 v[52:53], null, v[50:51], v[50:51], 1.0
	s_delay_alu instid0(VALU_DEP_1) | instskip(SKIP_2) | instid1(VALU_DEP_1)
	v_rcp_f64_e32 v[62:63], v[52:53]
	s_waitcnt_depctr 0xfff
	v_fma_f64 v[64:65], -v[52:53], v[62:63], 1.0
	v_fma_f64 v[62:63], v[62:63], v[64:65], v[62:63]
	s_delay_alu instid0(VALU_DEP_1) | instskip(NEXT) | instid1(VALU_DEP_1)
	v_fma_f64 v[64:65], -v[52:53], v[62:63], 1.0
	v_fma_f64 v[62:63], v[62:63], v[64:65], v[62:63]
	v_div_scale_f64 v[64:65], vcc_lo, 1.0, v[50:51], 1.0
	s_delay_alu instid0(VALU_DEP_1) | instskip(NEXT) | instid1(VALU_DEP_1)
	v_mul_f64 v[66:67], v[64:65], v[62:63]
	v_fma_f64 v[52:53], -v[52:53], v[66:67], v[64:65]
	s_delay_alu instid0(VALU_DEP_1) | instskip(NEXT) | instid1(VALU_DEP_1)
	v_div_fmas_f64 v[52:53], v[52:53], v[62:63], v[66:67]
	v_div_fixup_f64 v[52:53], v[52:53], v[50:51], 1.0
	s_delay_alu instid0(VALU_DEP_1)
	v_mul_f64 v[48:49], v[48:49], v[52:53]
.LBB21_93:                              ;   in Loop: Header=BB21_89 Depth=4
	s_and_not1_saveexec_b32 s74, s74
	s_cbranch_execz .LBB21_95
; %bb.94:                               ;   in Loop: Header=BB21_89 Depth=4
	v_div_scale_f64 v[48:49], null, v[46:47], v[46:47], -v[34:35]
	v_div_scale_f64 v[62:63], vcc_lo, -v[34:35], v[46:47], -v[34:35]
	s_delay_alu instid0(VALU_DEP_2) | instskip(SKIP_2) | instid1(VALU_DEP_1)
	v_rcp_f64_e32 v[50:51], v[48:49]
	s_waitcnt_depctr 0xfff
	v_fma_f64 v[52:53], -v[48:49], v[50:51], 1.0
	v_fma_f64 v[50:51], v[50:51], v[52:53], v[50:51]
	s_delay_alu instid0(VALU_DEP_1) | instskip(NEXT) | instid1(VALU_DEP_1)
	v_fma_f64 v[52:53], -v[48:49], v[50:51], 1.0
	v_fma_f64 v[50:51], v[50:51], v[52:53], v[50:51]
	s_delay_alu instid0(VALU_DEP_1) | instskip(NEXT) | instid1(VALU_DEP_1)
	v_mul_f64 v[52:53], v[62:63], v[50:51]
	v_fma_f64 v[48:49], -v[48:49], v[52:53], v[62:63]
	s_delay_alu instid0(VALU_DEP_1) | instskip(NEXT) | instid1(VALU_DEP_1)
	v_div_fmas_f64 v[48:49], v[48:49], v[50:51], v[52:53]
	v_div_fixup_f64 v[50:51], v[48:49], v[46:47], -v[34:35]
	s_delay_alu instid0(VALU_DEP_1) | instskip(NEXT) | instid1(VALU_DEP_1)
	v_fma_f64 v[48:49], v[50:51], v[50:51], 1.0
	v_cmp_gt_f64_e32 vcc_lo, 0x10000000, v[48:49]
	v_cndmask_b32_e64 v2, 0, 1, vcc_lo
	s_delay_alu instid0(VALU_DEP_1) | instskip(NEXT) | instid1(VALU_DEP_1)
	v_lshlrev_b32_e32 v2, 8, v2
	v_ldexp_f64 v[48:49], v[48:49], v2
	v_cndmask_b32_e64 v2, 0, 0xffffff80, vcc_lo
	s_delay_alu instid0(VALU_DEP_2) | instskip(SKIP_4) | instid1(VALU_DEP_1)
	v_rsq_f64_e32 v[52:53], v[48:49]
	v_cmp_class_f64_e64 vcc_lo, v[48:49], 0x260
	s_waitcnt_depctr 0xfff
	v_mul_f64 v[62:63], v[48:49], v[52:53]
	v_mul_f64 v[52:53], v[52:53], 0.5
	v_fma_f64 v[64:65], -v[52:53], v[62:63], 0.5
	s_delay_alu instid0(VALU_DEP_1) | instskip(SKIP_1) | instid1(VALU_DEP_2)
	v_fma_f64 v[62:63], v[62:63], v[64:65], v[62:63]
	v_fma_f64 v[52:53], v[52:53], v[64:65], v[52:53]
	v_fma_f64 v[64:65], -v[62:63], v[62:63], v[48:49]
	s_delay_alu instid0(VALU_DEP_1) | instskip(NEXT) | instid1(VALU_DEP_1)
	v_fma_f64 v[62:63], v[64:65], v[52:53], v[62:63]
	v_fma_f64 v[64:65], -v[62:63], v[62:63], v[48:49]
	s_delay_alu instid0(VALU_DEP_1) | instskip(NEXT) | instid1(VALU_DEP_1)
	v_fma_f64 v[52:53], v[64:65], v[52:53], v[62:63]
	v_ldexp_f64 v[52:53], v[52:53], v2
	s_delay_alu instid0(VALU_DEP_1) | instskip(NEXT) | instid1(VALU_DEP_1)
	v_dual_cndmask_b32 v49, v53, v49 :: v_dual_cndmask_b32 v48, v52, v48
	v_div_scale_f64 v[52:53], null, v[48:49], v[48:49], 1.0
	s_delay_alu instid0(VALU_DEP_1) | instskip(SKIP_2) | instid1(VALU_DEP_1)
	v_rcp_f64_e32 v[62:63], v[52:53]
	s_waitcnt_depctr 0xfff
	v_fma_f64 v[64:65], -v[52:53], v[62:63], 1.0
	v_fma_f64 v[62:63], v[62:63], v[64:65], v[62:63]
	s_delay_alu instid0(VALU_DEP_1) | instskip(NEXT) | instid1(VALU_DEP_1)
	v_fma_f64 v[64:65], -v[52:53], v[62:63], 1.0
	v_fma_f64 v[62:63], v[62:63], v[64:65], v[62:63]
	v_div_scale_f64 v[64:65], vcc_lo, 1.0, v[48:49], 1.0
	s_delay_alu instid0(VALU_DEP_1) | instskip(NEXT) | instid1(VALU_DEP_1)
	v_mul_f64 v[66:67], v[64:65], v[62:63]
	v_fma_f64 v[52:53], -v[52:53], v[66:67], v[64:65]
	s_delay_alu instid0(VALU_DEP_1) | instskip(NEXT) | instid1(VALU_DEP_1)
	v_div_fmas_f64 v[52:53], v[52:53], v[62:63], v[66:67]
	v_div_fixup_f64 v[48:49], v[52:53], v[48:49], 1.0
	s_delay_alu instid0(VALU_DEP_1)
	v_mul_f64 v[52:53], v[50:51], v[48:49]
.LBB21_95:                              ;   in Loop: Header=BB21_89 Depth=4
	s_or_b32 exec_lo, exec_lo, s74
	s_delay_alu instid0(VALU_DEP_1) | instskip(NEXT) | instid1(VALU_DEP_1)
	v_mul_f64 v[46:47], v[46:47], v[48:49]
	v_fma_f64 v[34:35], v[34:35], v[52:53], -v[46:47]
                                        ; implicit-def: $vgpr46_vgpr47
.LBB21_96:                              ;   in Loop: Header=BB21_89 Depth=4
	s_and_not1_saveexec_b32 s73, s73
; %bb.97:                               ;   in Loop: Header=BB21_89 Depth=4
	v_xor_b32_e32 v47, 0x80000000, v47
	v_mov_b32_e32 v48, 0
	v_dual_mov_b32 v49, 0x3ff00000 :: v_dual_mov_b32 v52, 0
	v_dual_mov_b32 v53, 0 :: v_dual_mov_b32 v34, v46
	s_delay_alu instid0(VALU_DEP_4)
	v_mov_b32_e32 v35, v47
; %bb.98:                               ;   in Loop: Header=BB21_89 Depth=4
	s_or_b32 exec_lo, exec_lo, s73
.LBB21_99:                              ;   in Loop: Header=BB21_89 Depth=4
	s_delay_alu instid0(SALU_CYCLE_1)
	s_or_b32 exec_lo, exec_lo, vcc_hi
	s_cmp_eq_u32 s103, 0
	s_cbranch_scc1 .LBB21_88
; %bb.100:                              ;   in Loop: Header=BB21_89 Depth=4
	global_store_b64 v[44:45], v[34:35], off offset:8
	s_branch .LBB21_88
.LBB21_101:                             ;   in Loop: Header=BB21_62 Depth=3
	s_or_b32 exec_lo, exec_lo, s104
	ds_store_b64 v8, v[36:37]
.LBB21_102:                             ;   in Loop: Header=BB21_62 Depth=3
	s_or_b32 exec_lo, exec_lo, s61
	global_load_b64 v[42:43], v[32:33], off
.LBB21_103:                             ;   in Loop: Header=BB21_62 Depth=3
	s_or_b32 exec_lo, exec_lo, s60
	s_waitcnt vmcnt(0)
	v_add_f64 v[1:2], v[42:43], -v[36:37]
                                        ; implicit-def: $vgpr31
                                        ; implicit-def: $vgpr42_vgpr43
	global_store_b64 v[32:33], v[1:2], off
	global_store_b64 v[3:4], v[34:35], off
                                        ; implicit-def: $vgpr34_vgpr35
                                        ; implicit-def: $vgpr32_vgpr33
.LBB21_104:                             ;   in Loop: Header=BB21_62 Depth=3
	s_and_not1_saveexec_b32 s52, s3
	s_cbranch_execz .LBB21_141
; %bb.105:                              ;   in Loop: Header=BB21_62 Depth=3
	v_add_co_u32 v36, vcc_lo, s86, v34
	v_add_co_ci_u32_e32 v37, vcc_lo, s87, v35, vcc_lo
                                        ; implicit-def: $vgpr46_vgpr47
	global_load_b64 v[1:2], v[32:33], off offset:8
	global_load_b64 v[44:45], v[36:37], off
	s_waitcnt vmcnt(1)
	v_add_f64 v[40:41], v[42:43], -v[1:2]
	s_waitcnt vmcnt(0)
	v_add_f64 v[38:39], v[44:45], v[44:45]
	s_delay_alu instid0(VALU_DEP_1) | instskip(NEXT) | instid1(VALU_DEP_1)
	v_cmp_ngt_f64_e64 s3, |v[40:41]|, |v[38:39]|
	s_and_saveexec_b32 s53, s3
	s_delay_alu instid0(SALU_CYCLE_1)
	s_xor_b32 s3, exec_lo, s53
	s_cbranch_execz .LBB21_111
; %bb.106:                              ;   in Loop: Header=BB21_62 Depth=3
	v_cmp_nlt_f64_e64 s53, |v[40:41]|, |v[38:39]|
                                        ; implicit-def: $vgpr46_vgpr47
	s_delay_alu instid0(VALU_DEP_1) | instskip(NEXT) | instid1(SALU_CYCLE_1)
	s_and_saveexec_b32 s54, s53
	s_xor_b32 s53, exec_lo, s54
; %bb.107:                              ;   in Loop: Header=BB21_62 Depth=3
	v_mul_f64 v[46:47], |v[38:39]|, s[18:19]
; %bb.108:                              ;   in Loop: Header=BB21_62 Depth=3
	s_and_not1_saveexec_b32 s53, s53
	s_cbranch_execz .LBB21_110
; %bb.109:                              ;   in Loop: Header=BB21_62 Depth=3
	v_dual_mov_b32 v3, v40 :: v_dual_and_b32 v4, 0x7fffffff, v41
	v_dual_mov_b32 v46, v38 :: v_dual_and_b32 v47, 0x7fffffff, v39
	s_delay_alu instid0(VALU_DEP_1) | instskip(SKIP_1) | instid1(VALU_DEP_2)
	v_div_scale_f64 v[48:49], null, v[46:47], v[46:47], v[3:4]
	v_div_scale_f64 v[3:4], vcc_lo, v[3:4], v[46:47], v[3:4]
	v_rcp_f64_e32 v[50:51], v[48:49]
	s_waitcnt_depctr 0xfff
	v_fma_f64 v[52:53], -v[48:49], v[50:51], 1.0
	s_delay_alu instid0(VALU_DEP_1) | instskip(NEXT) | instid1(VALU_DEP_1)
	v_fma_f64 v[50:51], v[50:51], v[52:53], v[50:51]
	v_fma_f64 v[52:53], -v[48:49], v[50:51], 1.0
	s_delay_alu instid0(VALU_DEP_1) | instskip(NEXT) | instid1(VALU_DEP_1)
	v_fma_f64 v[46:47], v[50:51], v[52:53], v[50:51]
	v_mul_f64 v[50:51], v[3:4], v[46:47]
	s_delay_alu instid0(VALU_DEP_1) | instskip(NEXT) | instid1(VALU_DEP_1)
	v_fma_f64 v[3:4], -v[48:49], v[50:51], v[3:4]
	v_div_fmas_f64 v[3:4], v[3:4], v[46:47], v[50:51]
	s_delay_alu instid0(VALU_DEP_1) | instskip(NEXT) | instid1(VALU_DEP_1)
	v_div_fixup_f64 v[3:4], v[3:4], |v[38:39]|, |v[40:41]|
	v_fma_f64 v[3:4], v[3:4], v[3:4], 1.0
	s_delay_alu instid0(VALU_DEP_1) | instskip(SKIP_1) | instid1(VALU_DEP_1)
	v_cmp_gt_f64_e32 vcc_lo, 0x10000000, v[3:4]
	v_cndmask_b32_e64 v7, 0, 1, vcc_lo
	v_lshlrev_b32_e32 v7, 8, v7
	s_delay_alu instid0(VALU_DEP_1) | instskip(SKIP_1) | instid1(VALU_DEP_2)
	v_ldexp_f64 v[3:4], v[3:4], v7
	v_cndmask_b32_e64 v7, 0, 0xffffff80, vcc_lo
	v_rsq_f64_e32 v[46:47], v[3:4]
	v_cmp_class_f64_e64 vcc_lo, v[3:4], 0x260
	s_waitcnt_depctr 0xfff
	v_mul_f64 v[48:49], v[3:4], v[46:47]
	v_mul_f64 v[46:47], v[46:47], 0.5
	s_delay_alu instid0(VALU_DEP_1) | instskip(NEXT) | instid1(VALU_DEP_1)
	v_fma_f64 v[50:51], -v[46:47], v[48:49], 0.5
	v_fma_f64 v[48:49], v[48:49], v[50:51], v[48:49]
	v_fma_f64 v[46:47], v[46:47], v[50:51], v[46:47]
	s_delay_alu instid0(VALU_DEP_2) | instskip(NEXT) | instid1(VALU_DEP_1)
	v_fma_f64 v[50:51], -v[48:49], v[48:49], v[3:4]
	v_fma_f64 v[48:49], v[50:51], v[46:47], v[48:49]
	s_delay_alu instid0(VALU_DEP_1) | instskip(NEXT) | instid1(VALU_DEP_1)
	v_fma_f64 v[50:51], -v[48:49], v[48:49], v[3:4]
	v_fma_f64 v[46:47], v[50:51], v[46:47], v[48:49]
	s_delay_alu instid0(VALU_DEP_1) | instskip(NEXT) | instid1(VALU_DEP_1)
	v_ldexp_f64 v[46:47], v[46:47], v7
	v_dual_cndmask_b32 v4, v47, v4 :: v_dual_cndmask_b32 v3, v46, v3
	s_delay_alu instid0(VALU_DEP_1)
	v_mul_f64 v[46:47], |v[38:39]|, v[3:4]
.LBB21_110:                             ;   in Loop: Header=BB21_62 Depth=3
	s_or_b32 exec_lo, exec_lo, s53
.LBB21_111:                             ;   in Loop: Header=BB21_62 Depth=3
	s_and_not1_saveexec_b32 s3, s3
	s_cbranch_execz .LBB21_113
; %bb.112:                              ;   in Loop: Header=BB21_62 Depth=3
	v_dual_mov_b32 v3, v38 :: v_dual_and_b32 v4, 0x7fffffff, v39
	v_dual_mov_b32 v46, v40 :: v_dual_and_b32 v47, 0x7fffffff, v41
	s_delay_alu instid0(VALU_DEP_1) | instskip(SKIP_1) | instid1(VALU_DEP_2)
	v_div_scale_f64 v[48:49], null, v[46:47], v[46:47], v[3:4]
	v_div_scale_f64 v[3:4], vcc_lo, v[3:4], v[46:47], v[3:4]
	v_rcp_f64_e32 v[50:51], v[48:49]
	s_waitcnt_depctr 0xfff
	v_fma_f64 v[52:53], -v[48:49], v[50:51], 1.0
	s_delay_alu instid0(VALU_DEP_1) | instskip(NEXT) | instid1(VALU_DEP_1)
	v_fma_f64 v[50:51], v[50:51], v[52:53], v[50:51]
	v_fma_f64 v[52:53], -v[48:49], v[50:51], 1.0
	s_delay_alu instid0(VALU_DEP_1) | instskip(NEXT) | instid1(VALU_DEP_1)
	v_fma_f64 v[46:47], v[50:51], v[52:53], v[50:51]
	v_mul_f64 v[50:51], v[3:4], v[46:47]
	s_delay_alu instid0(VALU_DEP_1) | instskip(NEXT) | instid1(VALU_DEP_1)
	v_fma_f64 v[3:4], -v[48:49], v[50:51], v[3:4]
	v_div_fmas_f64 v[3:4], v[3:4], v[46:47], v[50:51]
	s_delay_alu instid0(VALU_DEP_1) | instskip(NEXT) | instid1(VALU_DEP_1)
	v_div_fixup_f64 v[3:4], v[3:4], |v[40:41]|, |v[38:39]|
	v_fma_f64 v[3:4], v[3:4], v[3:4], 1.0
	s_delay_alu instid0(VALU_DEP_1) | instskip(SKIP_1) | instid1(VALU_DEP_1)
	v_cmp_gt_f64_e32 vcc_lo, 0x10000000, v[3:4]
	v_cndmask_b32_e64 v7, 0, 1, vcc_lo
	v_lshlrev_b32_e32 v7, 8, v7
	s_delay_alu instid0(VALU_DEP_1) | instskip(SKIP_1) | instid1(VALU_DEP_2)
	v_ldexp_f64 v[3:4], v[3:4], v7
	v_cndmask_b32_e64 v7, 0, 0xffffff80, vcc_lo
	v_rsq_f64_e32 v[46:47], v[3:4]
	v_cmp_class_f64_e64 vcc_lo, v[3:4], 0x260
	s_waitcnt_depctr 0xfff
	v_mul_f64 v[48:49], v[3:4], v[46:47]
	v_mul_f64 v[46:47], v[46:47], 0.5
	s_delay_alu instid0(VALU_DEP_1) | instskip(NEXT) | instid1(VALU_DEP_1)
	v_fma_f64 v[50:51], -v[46:47], v[48:49], 0.5
	v_fma_f64 v[48:49], v[48:49], v[50:51], v[48:49]
	v_fma_f64 v[46:47], v[46:47], v[50:51], v[46:47]
	s_delay_alu instid0(VALU_DEP_2) | instskip(NEXT) | instid1(VALU_DEP_1)
	v_fma_f64 v[50:51], -v[48:49], v[48:49], v[3:4]
	v_fma_f64 v[48:49], v[50:51], v[46:47], v[48:49]
	s_delay_alu instid0(VALU_DEP_1) | instskip(NEXT) | instid1(VALU_DEP_1)
	v_fma_f64 v[50:51], -v[48:49], v[48:49], v[3:4]
	v_fma_f64 v[46:47], v[50:51], v[46:47], v[48:49]
	s_delay_alu instid0(VALU_DEP_1) | instskip(NEXT) | instid1(VALU_DEP_1)
	v_ldexp_f64 v[46:47], v[46:47], v7
	v_dual_cndmask_b32 v4, v47, v4 :: v_dual_cndmask_b32 v3, v46, v3
	s_delay_alu instid0(VALU_DEP_1)
	v_mul_f64 v[46:47], |v[40:41]|, v[3:4]
.LBB21_113:                             ;   in Loop: Header=BB21_62 Depth=3
	s_or_b32 exec_lo, exec_lo, s3
	v_cmp_gt_f64_e64 vcc_lo, |v[42:43]|, |v[1:2]|
	v_add_f64 v[50:51], v[42:43], v[1:2]
	s_mov_b32 s53, exec_lo
                                        ; implicit-def: $vgpr7
                                        ; implicit-def: $vgpr3_vgpr4
	v_dual_cndmask_b32 v49, v43, v2 :: v_dual_cndmask_b32 v48, v42, v1
	v_dual_cndmask_b32 v43, v2, v43 :: v_dual_cndmask_b32 v42, v1, v42
	s_delay_alu instid0(VALU_DEP_3)
	v_cmpx_ngt_f64_e32 0, v[50:51]
	s_xor_b32 s53, exec_lo, s53
	s_cbranch_execz .LBB21_119
; %bb.114:                              ;   in Loop: Header=BB21_62 Depth=3
	s_mov_b32 s54, exec_lo
                                        ; implicit-def: $sgpr3
                                        ; implicit-def: $vgpr3_vgpr4
	v_cmpx_nlt_f64_e32 0, v[50:51]
	s_xor_b32 s54, exec_lo, s54
; %bb.115:                              ;   in Loop: Header=BB21_62 Depth=3
	v_mul_f64 v[1:2], v[46:47], 0.5
	v_mul_f64 v[3:4], v[46:47], -0.5
	s_mov_b32 s3, 1
                                        ; implicit-def: $vgpr50_vgpr51
                                        ; implicit-def: $vgpr42_vgpr43
                                        ; implicit-def: $vgpr44_vgpr45
                                        ; implicit-def: $vgpr48_vgpr49
; %bb.116:                              ;   in Loop: Header=BB21_62 Depth=3
	s_or_saveexec_b32 s54, s54
	v_mov_b32_e32 v7, s3
	s_xor_b32 exec_lo, exec_lo, s54
	s_cbranch_execz .LBB21_118
; %bb.117:                              ;   in Loop: Header=BB21_62 Depth=3
	v_add_f64 v[1:2], v[50:51], v[46:47]
	v_mov_b32_e32 v7, 1
	s_delay_alu instid0(VALU_DEP_2) | instskip(NEXT) | instid1(VALU_DEP_1)
	v_mul_f64 v[1:2], v[1:2], 0.5
	v_div_scale_f64 v[3:4], null, v[1:2], v[1:2], v[42:43]
	v_div_scale_f64 v[50:51], null, v[1:2], v[1:2], v[44:45]
	v_div_scale_f64 v[68:69], vcc_lo, v[42:43], v[1:2], v[42:43]
	s_delay_alu instid0(VALU_DEP_3) | instskip(NEXT) | instid1(VALU_DEP_2)
	v_rcp_f64_e32 v[52:53], v[3:4]
	v_rcp_f64_e32 v[62:63], v[50:51]
	s_waitcnt_depctr 0xfff
	v_fma_f64 v[64:65], -v[3:4], v[52:53], 1.0
	v_fma_f64 v[66:67], -v[50:51], v[62:63], 1.0
	s_delay_alu instid0(VALU_DEP_2) | instskip(NEXT) | instid1(VALU_DEP_2)
	v_fma_f64 v[52:53], v[52:53], v[64:65], v[52:53]
	v_fma_f64 v[62:63], v[62:63], v[66:67], v[62:63]
	s_delay_alu instid0(VALU_DEP_2) | instskip(NEXT) | instid1(VALU_DEP_2)
	v_fma_f64 v[64:65], -v[3:4], v[52:53], 1.0
	v_fma_f64 v[66:67], -v[50:51], v[62:63], 1.0
	s_delay_alu instid0(VALU_DEP_2) | instskip(SKIP_1) | instid1(VALU_DEP_3)
	v_fma_f64 v[52:53], v[52:53], v[64:65], v[52:53]
	v_div_scale_f64 v[64:65], s3, v[44:45], v[1:2], v[44:45]
	v_fma_f64 v[62:63], v[62:63], v[66:67], v[62:63]
	s_delay_alu instid0(VALU_DEP_3) | instskip(NEXT) | instid1(VALU_DEP_2)
	v_mul_f64 v[66:67], v[68:69], v[52:53]
	v_mul_f64 v[70:71], v[64:65], v[62:63]
	s_delay_alu instid0(VALU_DEP_2) | instskip(NEXT) | instid1(VALU_DEP_2)
	v_fma_f64 v[3:4], -v[3:4], v[66:67], v[68:69]
	v_fma_f64 v[50:51], -v[50:51], v[70:71], v[64:65]
	s_delay_alu instid0(VALU_DEP_2) | instskip(SKIP_1) | instid1(VALU_DEP_2)
	v_div_fmas_f64 v[3:4], v[3:4], v[52:53], v[66:67]
	s_mov_b32 vcc_lo, s3
	v_div_fmas_f64 v[50:51], v[50:51], v[62:63], v[70:71]
	s_delay_alu instid0(VALU_DEP_2) | instskip(NEXT) | instid1(VALU_DEP_2)
	v_div_fixup_f64 v[3:4], v[3:4], v[1:2], v[42:43]
	v_div_fixup_f64 v[50:51], v[50:51], v[1:2], v[44:45]
	s_delay_alu instid0(VALU_DEP_1) | instskip(NEXT) | instid1(VALU_DEP_1)
	v_mul_f64 v[42:43], v[44:45], v[50:51]
	v_fma_f64 v[3:4], v[48:49], v[3:4], -v[42:43]
.LBB21_118:                             ;   in Loop: Header=BB21_62 Depth=3
	s_or_b32 exec_lo, exec_lo, s54
                                        ; implicit-def: $vgpr50_vgpr51
                                        ; implicit-def: $vgpr42_vgpr43
                                        ; implicit-def: $vgpr44_vgpr45
                                        ; implicit-def: $vgpr48_vgpr49
.LBB21_119:                             ;   in Loop: Header=BB21_62 Depth=3
	s_and_not1_saveexec_b32 s53, s53
	s_cbranch_execz .LBB21_121
; %bb.120:                              ;   in Loop: Header=BB21_62 Depth=3
	v_add_f64 v[1:2], v[50:51], -v[46:47]
	v_mov_b32_e32 v7, -1
	s_delay_alu instid0(VALU_DEP_2) | instskip(NEXT) | instid1(VALU_DEP_1)
	v_mul_f64 v[1:2], v[1:2], 0.5
	v_div_scale_f64 v[3:4], null, v[1:2], v[1:2], v[42:43]
	v_div_scale_f64 v[50:51], null, v[1:2], v[1:2], v[44:45]
	v_div_scale_f64 v[68:69], vcc_lo, v[42:43], v[1:2], v[42:43]
	s_delay_alu instid0(VALU_DEP_3) | instskip(NEXT) | instid1(VALU_DEP_2)
	v_rcp_f64_e32 v[52:53], v[3:4]
	v_rcp_f64_e32 v[62:63], v[50:51]
	s_waitcnt_depctr 0xfff
	v_fma_f64 v[64:65], -v[3:4], v[52:53], 1.0
	v_fma_f64 v[66:67], -v[50:51], v[62:63], 1.0
	s_delay_alu instid0(VALU_DEP_2) | instskip(NEXT) | instid1(VALU_DEP_2)
	v_fma_f64 v[52:53], v[52:53], v[64:65], v[52:53]
	v_fma_f64 v[62:63], v[62:63], v[66:67], v[62:63]
	s_delay_alu instid0(VALU_DEP_2) | instskip(NEXT) | instid1(VALU_DEP_2)
	v_fma_f64 v[64:65], -v[3:4], v[52:53], 1.0
	v_fma_f64 v[66:67], -v[50:51], v[62:63], 1.0
	s_delay_alu instid0(VALU_DEP_2) | instskip(SKIP_1) | instid1(VALU_DEP_3)
	v_fma_f64 v[52:53], v[52:53], v[64:65], v[52:53]
	v_div_scale_f64 v[64:65], s3, v[44:45], v[1:2], v[44:45]
	v_fma_f64 v[62:63], v[62:63], v[66:67], v[62:63]
	s_delay_alu instid0(VALU_DEP_3) | instskip(NEXT) | instid1(VALU_DEP_2)
	v_mul_f64 v[66:67], v[68:69], v[52:53]
	v_mul_f64 v[70:71], v[64:65], v[62:63]
	s_delay_alu instid0(VALU_DEP_2) | instskip(NEXT) | instid1(VALU_DEP_2)
	v_fma_f64 v[3:4], -v[3:4], v[66:67], v[68:69]
	v_fma_f64 v[50:51], -v[50:51], v[70:71], v[64:65]
	s_delay_alu instid0(VALU_DEP_2) | instskip(SKIP_1) | instid1(VALU_DEP_2)
	v_div_fmas_f64 v[3:4], v[3:4], v[52:53], v[66:67]
	s_mov_b32 vcc_lo, s3
	v_div_fmas_f64 v[50:51], v[50:51], v[62:63], v[70:71]
	s_delay_alu instid0(VALU_DEP_2) | instskip(NEXT) | instid1(VALU_DEP_2)
	v_div_fixup_f64 v[3:4], v[3:4], v[1:2], v[42:43]
	v_div_fixup_f64 v[50:51], v[50:51], v[1:2], v[44:45]
	s_delay_alu instid0(VALU_DEP_1) | instskip(NEXT) | instid1(VALU_DEP_1)
	v_mul_f64 v[42:43], v[44:45], v[50:51]
	v_fma_f64 v[3:4], v[48:49], v[3:4], -v[42:43]
.LBB21_121:                             ;   in Loop: Header=BB21_62 Depth=3
	s_or_b32 exec_lo, exec_lo, s53
	s_delay_alu instid0(SALU_CYCLE_1)
	s_mov_b32 s53, exec_lo
                                        ; implicit-def: $vgpr42_vgpr43
                                        ; implicit-def: $sgpr3
	v_cmpx_le_f64_e32 0, v[40:41]
	s_xor_b32 s53, exec_lo, s53
; %bb.122:                              ;   in Loop: Header=BB21_62 Depth=3
	v_add_f64 v[42:43], v[40:41], v[46:47]
	s_mov_b32 s3, 1
                                        ; implicit-def: $vgpr40_vgpr41
                                        ; implicit-def: $vgpr46_vgpr47
; %bb.123:                              ;   in Loop: Header=BB21_62 Depth=3
	s_or_saveexec_b32 s53, s53
	v_mov_b32_e32 v48, s3
	s_xor_b32 exec_lo, exec_lo, s53
; %bb.124:                              ;   in Loop: Header=BB21_62 Depth=3
	v_add_f64 v[42:43], v[40:41], -v[46:47]
	v_mov_b32_e32 v48, -1
; %bb.125:                              ;   in Loop: Header=BB21_62 Depth=3
	s_or_b32 exec_lo, exec_lo, s53
	s_delay_alu instid0(VALU_DEP_2) | instskip(NEXT) | instid1(VALU_DEP_1)
	v_cmp_ngt_f64_e64 s3, |v[42:43]|, |v[38:39]|
                                        ; implicit-def: $vgpr40_vgpr41
                                        ; implicit-def: $vgpr44_vgpr45
	s_and_saveexec_b32 s53, s3
	s_delay_alu instid0(SALU_CYCLE_1)
	s_xor_b32 s3, exec_lo, s53
	s_cbranch_execz .LBB21_129
; %bb.126:                              ;   in Loop: Header=BB21_62 Depth=3
	v_mov_b32_e32 v40, 0
	v_dual_mov_b32 v41, 0x3ff00000 :: v_dual_mov_b32 v44, 0
	v_mov_b32_e32 v45, 0
	s_mov_b32 s53, exec_lo
	v_cmpx_neq_f64_e32 0, v[38:39]
	s_cbranch_execz .LBB21_128
; %bb.127:                              ;   in Loop: Header=BB21_62 Depth=3
	v_div_scale_f64 v[40:41], null, v[38:39], v[38:39], -v[42:43]
	v_div_scale_f64 v[49:50], vcc_lo, -v[42:43], v[38:39], -v[42:43]
	s_delay_alu instid0(VALU_DEP_2) | instskip(SKIP_2) | instid1(VALU_DEP_1)
	v_rcp_f64_e32 v[44:45], v[40:41]
	s_waitcnt_depctr 0xfff
	v_fma_f64 v[46:47], -v[40:41], v[44:45], 1.0
	v_fma_f64 v[44:45], v[44:45], v[46:47], v[44:45]
	s_delay_alu instid0(VALU_DEP_1) | instskip(NEXT) | instid1(VALU_DEP_1)
	v_fma_f64 v[46:47], -v[40:41], v[44:45], 1.0
	v_fma_f64 v[44:45], v[44:45], v[46:47], v[44:45]
	s_delay_alu instid0(VALU_DEP_1) | instskip(NEXT) | instid1(VALU_DEP_1)
	v_mul_f64 v[46:47], v[49:50], v[44:45]
	v_fma_f64 v[40:41], -v[40:41], v[46:47], v[49:50]
	s_delay_alu instid0(VALU_DEP_1) | instskip(NEXT) | instid1(VALU_DEP_1)
	v_div_fmas_f64 v[40:41], v[40:41], v[44:45], v[46:47]
	v_div_fixup_f64 v[38:39], v[40:41], v[38:39], -v[42:43]
	s_delay_alu instid0(VALU_DEP_1) | instskip(NEXT) | instid1(VALU_DEP_1)
	v_fma_f64 v[40:41], v[38:39], v[38:39], 1.0
	v_cmp_gt_f64_e32 vcc_lo, 0x10000000, v[40:41]
	v_cndmask_b32_e64 v42, 0, 1, vcc_lo
	s_delay_alu instid0(VALU_DEP_1) | instskip(NEXT) | instid1(VALU_DEP_1)
	v_lshlrev_b32_e32 v42, 8, v42
	v_ldexp_f64 v[40:41], v[40:41], v42
	s_delay_alu instid0(VALU_DEP_1) | instskip(SKIP_3) | instid1(VALU_DEP_1)
	v_rsq_f64_e32 v[42:43], v[40:41]
	s_waitcnt_depctr 0xfff
	v_mul_f64 v[44:45], v[40:41], v[42:43]
	v_mul_f64 v[42:43], v[42:43], 0.5
	v_fma_f64 v[46:47], -v[42:43], v[44:45], 0.5
	s_delay_alu instid0(VALU_DEP_1) | instskip(SKIP_1) | instid1(VALU_DEP_2)
	v_fma_f64 v[44:45], v[44:45], v[46:47], v[44:45]
	v_fma_f64 v[42:43], v[42:43], v[46:47], v[42:43]
	v_fma_f64 v[46:47], -v[44:45], v[44:45], v[40:41]
	s_delay_alu instid0(VALU_DEP_1) | instskip(NEXT) | instid1(VALU_DEP_1)
	v_fma_f64 v[44:45], v[46:47], v[42:43], v[44:45]
	v_fma_f64 v[46:47], -v[44:45], v[44:45], v[40:41]
	s_delay_alu instid0(VALU_DEP_1) | instskip(SKIP_2) | instid1(VALU_DEP_2)
	v_fma_f64 v[42:43], v[46:47], v[42:43], v[44:45]
	v_cndmask_b32_e64 v44, 0, 0xffffff80, vcc_lo
	v_cmp_class_f64_e64 vcc_lo, v[40:41], 0x260
	v_ldexp_f64 v[42:43], v[42:43], v44
	s_delay_alu instid0(VALU_DEP_1) | instskip(NEXT) | instid1(VALU_DEP_1)
	v_dual_cndmask_b32 v41, v43, v41 :: v_dual_cndmask_b32 v40, v42, v40
	v_div_scale_f64 v[42:43], null, v[40:41], v[40:41], 1.0
	s_delay_alu instid0(VALU_DEP_1) | instskip(SKIP_2) | instid1(VALU_DEP_1)
	v_rcp_f64_e32 v[44:45], v[42:43]
	s_waitcnt_depctr 0xfff
	v_fma_f64 v[46:47], -v[42:43], v[44:45], 1.0
	v_fma_f64 v[44:45], v[44:45], v[46:47], v[44:45]
	s_delay_alu instid0(VALU_DEP_1) | instskip(NEXT) | instid1(VALU_DEP_1)
	v_fma_f64 v[46:47], -v[42:43], v[44:45], 1.0
	v_fma_f64 v[44:45], v[44:45], v[46:47], v[44:45]
	v_div_scale_f64 v[46:47], vcc_lo, 1.0, v[40:41], 1.0
	s_delay_alu instid0(VALU_DEP_1) | instskip(NEXT) | instid1(VALU_DEP_1)
	v_mul_f64 v[49:50], v[46:47], v[44:45]
	v_fma_f64 v[42:43], -v[42:43], v[49:50], v[46:47]
	s_delay_alu instid0(VALU_DEP_1) | instskip(NEXT) | instid1(VALU_DEP_1)
	v_div_fmas_f64 v[42:43], v[42:43], v[44:45], v[49:50]
	v_div_fixup_f64 v[40:41], v[42:43], v[40:41], 1.0
	s_delay_alu instid0(VALU_DEP_1)
	v_mul_f64 v[44:45], v[38:39], v[40:41]
.LBB21_128:                             ;   in Loop: Header=BB21_62 Depth=3
	s_or_b32 exec_lo, exec_lo, s53
                                        ; implicit-def: $vgpr42_vgpr43
                                        ; implicit-def: $vgpr38_vgpr39
.LBB21_129:                             ;   in Loop: Header=BB21_62 Depth=3
	s_and_not1_saveexec_b32 s3, s3
	s_cbranch_execz .LBB21_131
; %bb.130:                              ;   in Loop: Header=BB21_62 Depth=3
	v_div_scale_f64 v[40:41], null, v[42:43], v[42:43], -v[38:39]
	v_div_scale_f64 v[49:50], vcc_lo, -v[38:39], v[42:43], -v[38:39]
	s_delay_alu instid0(VALU_DEP_2) | instskip(SKIP_2) | instid1(VALU_DEP_1)
	v_rcp_f64_e32 v[44:45], v[40:41]
	s_waitcnt_depctr 0xfff
	v_fma_f64 v[46:47], -v[40:41], v[44:45], 1.0
	v_fma_f64 v[44:45], v[44:45], v[46:47], v[44:45]
	s_delay_alu instid0(VALU_DEP_1) | instskip(NEXT) | instid1(VALU_DEP_1)
	v_fma_f64 v[46:47], -v[40:41], v[44:45], 1.0
	v_fma_f64 v[44:45], v[44:45], v[46:47], v[44:45]
	s_delay_alu instid0(VALU_DEP_1) | instskip(NEXT) | instid1(VALU_DEP_1)
	v_mul_f64 v[46:47], v[49:50], v[44:45]
	v_fma_f64 v[40:41], -v[40:41], v[46:47], v[49:50]
	s_delay_alu instid0(VALU_DEP_1) | instskip(NEXT) | instid1(VALU_DEP_1)
	v_div_fmas_f64 v[40:41], v[40:41], v[44:45], v[46:47]
	v_div_fixup_f64 v[38:39], v[40:41], v[42:43], -v[38:39]
	s_delay_alu instid0(VALU_DEP_1) | instskip(NEXT) | instid1(VALU_DEP_1)
	v_fma_f64 v[40:41], v[38:39], v[38:39], 1.0
	v_cmp_gt_f64_e32 vcc_lo, 0x10000000, v[40:41]
	v_cndmask_b32_e64 v42, 0, 1, vcc_lo
	s_delay_alu instid0(VALU_DEP_1) | instskip(NEXT) | instid1(VALU_DEP_1)
	v_lshlrev_b32_e32 v42, 8, v42
	v_ldexp_f64 v[40:41], v[40:41], v42
	s_delay_alu instid0(VALU_DEP_1) | instskip(SKIP_3) | instid1(VALU_DEP_1)
	v_rsq_f64_e32 v[42:43], v[40:41]
	s_waitcnt_depctr 0xfff
	v_mul_f64 v[44:45], v[40:41], v[42:43]
	v_mul_f64 v[42:43], v[42:43], 0.5
	v_fma_f64 v[46:47], -v[42:43], v[44:45], 0.5
	s_delay_alu instid0(VALU_DEP_1) | instskip(SKIP_1) | instid1(VALU_DEP_2)
	v_fma_f64 v[44:45], v[44:45], v[46:47], v[44:45]
	v_fma_f64 v[42:43], v[42:43], v[46:47], v[42:43]
	v_fma_f64 v[46:47], -v[44:45], v[44:45], v[40:41]
	s_delay_alu instid0(VALU_DEP_1) | instskip(NEXT) | instid1(VALU_DEP_1)
	v_fma_f64 v[44:45], v[46:47], v[42:43], v[44:45]
	v_fma_f64 v[46:47], -v[44:45], v[44:45], v[40:41]
	s_delay_alu instid0(VALU_DEP_1) | instskip(SKIP_2) | instid1(VALU_DEP_2)
	v_fma_f64 v[42:43], v[46:47], v[42:43], v[44:45]
	v_cndmask_b32_e64 v44, 0, 0xffffff80, vcc_lo
	v_cmp_class_f64_e64 vcc_lo, v[40:41], 0x260
	v_ldexp_f64 v[42:43], v[42:43], v44
	s_delay_alu instid0(VALU_DEP_1) | instskip(NEXT) | instid1(VALU_DEP_1)
	v_dual_cndmask_b32 v41, v43, v41 :: v_dual_cndmask_b32 v40, v42, v40
	v_div_scale_f64 v[42:43], null, v[40:41], v[40:41], 1.0
	s_delay_alu instid0(VALU_DEP_1) | instskip(SKIP_2) | instid1(VALU_DEP_1)
	v_rcp_f64_e32 v[44:45], v[42:43]
	s_waitcnt_depctr 0xfff
	v_fma_f64 v[46:47], -v[42:43], v[44:45], 1.0
	v_fma_f64 v[44:45], v[44:45], v[46:47], v[44:45]
	s_delay_alu instid0(VALU_DEP_1) | instskip(NEXT) | instid1(VALU_DEP_1)
	v_fma_f64 v[46:47], -v[42:43], v[44:45], 1.0
	v_fma_f64 v[44:45], v[44:45], v[46:47], v[44:45]
	v_div_scale_f64 v[46:47], vcc_lo, 1.0, v[40:41], 1.0
	s_delay_alu instid0(VALU_DEP_1) | instskip(NEXT) | instid1(VALU_DEP_1)
	v_mul_f64 v[49:50], v[46:47], v[44:45]
	v_fma_f64 v[42:43], -v[42:43], v[49:50], v[46:47]
	s_delay_alu instid0(VALU_DEP_1) | instskip(NEXT) | instid1(VALU_DEP_1)
	v_div_fmas_f64 v[42:43], v[42:43], v[44:45], v[49:50]
	v_div_fixup_f64 v[44:45], v[42:43], v[40:41], 1.0
	s_delay_alu instid0(VALU_DEP_1)
	v_mul_f64 v[40:41], v[38:39], v[44:45]
.LBB21_131:                             ;   in Loop: Header=BB21_62 Depth=3
	s_or_b32 exec_lo, exec_lo, s3
	v_cmp_eq_u32_e32 vcc_lo, v7, v48
	s_delay_alu instid0(VALU_DEP_2) | instskip(SKIP_1) | instid1(VALU_DEP_1)
	v_xor_b32_e32 v7, 0x80000000, v45
	v_add_co_u32 v34, s3, s40, v34
	v_add_co_ci_u32_e64 v35, s3, s41, v35, s3
	v_dual_cndmask_b32 v39, v45, v41 :: v_dual_cndmask_b32 v38, v44, v40
	s_delay_alu instid0(VALU_DEP_4) | instskip(NEXT) | instid1(VALU_DEP_4)
	v_dual_cndmask_b32 v41, v41, v7 :: v_dual_cndmask_b32 v40, v40, v44
	v_add_co_u32 v42, vcc_lo, v34, s44
	v_add_nc_u32_e32 v31, 2, v31
	v_add_co_ci_u32_e32 v43, vcc_lo, s45, v35, vcc_lo
	v_mov_b32_e32 v7, v8
	s_clause 0x1
	global_store_b64 v[34:35], v[40:41], off
	global_store_b64 v[42:43], v[38:39], off offset:-8
	global_store_b128 v[32:33], v[1:4], off
	global_store_b64 v[36:37], v[7:8], off
	ds_store_b32 v8, v31 offset:16
	s_or_b32 exec_lo, exec_lo, s52
                                        ; implicit-def: $vgpr2
.LBB21_132:                             ;   in Loop: Header=BB21_62 Depth=3
	s_and_not1_saveexec_b32 s3, s21
	s_cbranch_execz .LBB21_134
.LBB21_133:                             ;   in Loop: Header=BB21_62 Depth=3
	ds_store_b32 v8, v2 offset:16
.LBB21_134:                             ;   in Loop: Header=BB21_62 Depth=3
	s_or_b32 exec_lo, exec_lo, s3
.LBB21_135:                             ;   in Loop: Header=BB21_62 Depth=3
	s_delay_alu instid0(SALU_CYCLE_1)
	s_or_b32 exec_lo, exec_lo, s10
	s_waitcnt lgkmcnt(0)
	s_waitcnt_vscnt null, 0x0
	s_barrier
	buffer_gl0_inv
	ds_load_b64 v[1:2], v8 offset:16
	s_waitcnt lgkmcnt(0)
	v_readfirstlane_b32 s3, v2
	s_delay_alu instid0(VALU_DEP_1)
	v_cmp_eq_u32_e32 vcc_lo, s3, v1
	v_mov_b32_e32 v31, s3
	s_cbranch_vccnz .LBB21_61
; %bb.136:                              ;   in Loop: Header=BB21_62 Depth=3
	s_and_saveexec_b32 s21, s1
	s_cbranch_execz .LBB21_60
; %bb.137:                              ;   in Loop: Header=BB21_62 Depth=3
	ds_load_b32 v1, v8 offset:28
	v_mov_b32_e32 v7, v0
	s_waitcnt lgkmcnt(0)
	v_readfirstlane_b32 s10, v1
	v_mul_lo_u32 v3, v1, s27
	v_ashrrev_i32_e32 v2, 31, v1
	s_delay_alu instid0(VALU_DEP_3) | instskip(NEXT) | instid1(VALU_DEP_1)
	s_sub_i32 s52, s3, s10
	v_lshlrev_b64 v[1:2], 3, v[1:2]
	s_mul_hi_i32 s55, s52, s16
	s_mul_i32 s54, s52, s16
	s_delay_alu instid0(VALU_DEP_3)
	v_ashrrev_i32_e32 v4, 31, v3
	s_lshl_b64 s[54:55], s[54:55], 3
	s_cmp_gt_i32 s52, 0
	s_cselect_b32 s53, -1, 0
	s_add_i32 s10, s52, -1
	v_lshlrev_b64 v[3:4], 3, v[3:4]
	s_lshl_b64 s[56:57], s[10:11], 3
	s_mul_i32 s3, s9, s10
	v_add_co_u32 v1, vcc_lo, v1, s56
	v_add_co_ci_u32_e32 v2, vcc_lo, s57, v2, vcc_lo
	s_delay_alu instid0(VALU_DEP_3)
	v_add_co_u32 v39, vcc_lo, s88, v3
	s_mul_hi_u32 s58, s8, s10
	s_mul_i32 s10, s8, s10
	v_add_co_ci_u32_e32 v40, vcc_lo, s89, v4, vcc_lo
	s_add_i32 s58, s58, s3
	v_add_co_u32 v3, vcc_lo, s10, v3
	v_add_co_ci_u32_e32 v4, vcc_lo, s58, v4, vcc_lo
	v_add_co_u32 v1, vcc_lo, s99, v1
	v_add_co_ci_u32_e32 v2, vcc_lo, s100, v2, vcc_lo
	;; [unrolled: 2-line block ×4, first 2 shown]
	s_mov_b32 s10, 0
	s_branch .LBB21_139
.LBB21_138:                             ;   in Loop: Header=BB21_139 Depth=4
	v_add_nc_u32_e32 v7, s13, v7
	v_add_co_u32 v3, s3, v3, s75
	s_delay_alu instid0(VALU_DEP_1) | instskip(NEXT) | instid1(VALU_DEP_3)
	v_add_co_ci_u32_e64 v4, s3, 0, v4, s3
	v_cmp_le_i32_e32 vcc_lo, s24, v7
	s_waitcnt vmcnt(0) lgkmcnt(0)
	flat_store_b64 v[33:34], v[31:32]
	s_or_b32 s10, vcc_lo, s10
	s_delay_alu instid0(SALU_CYCLE_1)
	s_and_not1_b32 exec_lo, exec_lo, s10
	s_cbranch_execz .LBB21_60
.LBB21_139:                             ;   Parent Loop BB21_7 Depth=1
                                        ;     Parent Loop BB21_40 Depth=2
                                        ;       Parent Loop BB21_62 Depth=3
                                        ; =>      This Loop Header: Depth=4
                                        ;           Child Loop BB21_140 Depth 5
	v_lshlrev_b64 v[33:34], 3, v[7:8]
	s_delay_alu instid0(VALU_DEP_2) | instskip(SKIP_2) | instid1(VALU_DEP_3)
	v_dual_mov_b32 v36, v4 :: v_dual_mov_b32 v35, v3
	v_dual_mov_b32 v38, v2 :: v_dual_mov_b32 v37, v1
	s_mov_b32 s3, s52
	v_add_co_u32 v31, vcc_lo, v41, v33
	s_delay_alu instid0(VALU_DEP_4)
	v_add_co_ci_u32_e32 v32, vcc_lo, v42, v34, vcc_lo
	v_add_co_u32 v33, vcc_lo, v39, v33
	v_add_co_ci_u32_e32 v34, vcc_lo, v40, v34, vcc_lo
	flat_load_b64 v[31:32], v[31:32]
	s_and_not1_b32 vcc_lo, exec_lo, s53
	s_cbranch_vccnz .LBB21_138
	.p2align	6
.LBB21_140:                             ;   Parent Loop BB21_7 Depth=1
                                        ;     Parent Loop BB21_40 Depth=2
                                        ;       Parent Loop BB21_62 Depth=3
                                        ;         Parent Loop BB21_139 Depth=4
                                        ; =>        This Inner Loop Header: Depth=5
	v_add_co_u32 v43, vcc_lo, v37, s25
	v_add_co_ci_u32_e32 v44, vcc_lo, s98, v38, vcc_lo
	s_mul_i32 s55, s3, s17
	s_mul_hi_u32 s57, s3, s16
	flat_load_b64 v[45:46], v[35:36]
	s_clause 0x1
	global_load_b64 v[43:44], v[43:44], off
	global_load_b64 v[47:48], v[37:38], off
	s_mul_i32 s54, s3, s16
	s_add_i32 s55, s57, s55
	v_add_co_u32 v37, vcc_lo, v37, -8
	s_lshl_b64 s[54:55], s[54:55], 3
	v_add_co_ci_u32_e32 v38, vcc_lo, -1, v38, vcc_lo
	s_add_i32 s56, s3, -1
	v_add_co_u32 v35, vcc_lo, v35, s80
	v_add_co_ci_u32_e32 v36, vcc_lo, s81, v36, vcc_lo
	s_cmp_eq_u32 s56, 0
	s_waitcnt vmcnt(1) lgkmcnt(0)
	v_mul_f64 v[49:50], v[43:44], v[45:46]
	s_waitcnt vmcnt(0)
	v_mul_f64 v[45:46], v[47:48], v[45:46]
	s_delay_alu instid0(VALU_DEP_2) | instskip(NEXT) | instid1(VALU_DEP_2)
	v_fma_f64 v[47:48], v[31:32], v[47:48], -v[49:50]
	v_fma_f64 v[31:32], v[31:32], v[43:44], v[45:46]
	v_add_co_u32 v43, s3, v33, s54
	s_delay_alu instid0(VALU_DEP_1)
	v_add_co_ci_u32_e64 v44, s3, s55, v34, s3
	s_mov_b32 s3, s56
	flat_store_b64 v[43:44], v[47:48]
	s_cbranch_scc0 .LBB21_140
	s_branch .LBB21_138
.LBB21_141:                             ;   in Loop: Header=BB21_62 Depth=3
	s_or_b32 exec_lo, exec_lo, s52
                                        ; implicit-def: $vgpr2
	s_and_not1_saveexec_b32 s3, s21
	s_cbranch_execnz .LBB21_133
	s_branch .LBB21_134
.LBB21_142:                             ;   in Loop: Header=BB21_40 Depth=2
	v_dual_mov_b32 v30, v22 :: v_dual_mov_b32 v29, v21
	v_dual_mov_b32 v28, v20 :: v_dual_mov_b32 v27, v19
	v_mov_b32_e32 v24, v61
	s_branch .LBB21_243
.LBB21_143:                             ;   in Loop: Header=BB21_40 Depth=2
                                        ; implicit-def: $vgpr29_vgpr30
                                        ; implicit-def: $vgpr27_vgpr28
                                        ; implicit-def: $vgpr24
	s_branch .LBB21_146
.LBB21_144:                             ;   in Loop: Header=BB21_146 Depth=3
	s_or_b32 exec_lo, exec_lo, s10
	s_waitcnt lgkmcnt(0)
	s_waitcnt_vscnt null, 0x0
	s_barrier
	buffer_gl0_inv
	ds_load_b32 v23, v8 offset:16
.LBB21_145:                             ;   in Loop: Header=BB21_146 Depth=3
	ds_load_b64 v[25:26], v8 offset:32
	s_waitcnt lgkmcnt(0)
	v_cmp_ge_i32_e32 vcc_lo, v23, v25
	v_cmp_gt_i32_e64 s2, s15, v26
	s_delay_alu instid0(VALU_DEP_1)
	s_and_b32 s2, vcc_lo, s2
.LBB21_146:                             ;   Parent Loop BB21_7 Depth=1
                                        ;     Parent Loop BB21_40 Depth=2
                                        ; =>    This Loop Header: Depth=3
                                        ;         Child Loop BB21_155 Depth 4
                                        ;         Child Loop BB21_174 Depth 4
	;; [unrolled: 1-line block ×3, first 2 shown]
                                        ;           Child Loop BB21_225 Depth 5
	s_delay_alu instid0(SALU_CYCLE_1)
	s_and_not1_b32 vcc_lo, exec_lo, s2
	s_cbranch_vccnz .LBB21_227
; %bb.147:                              ;   in Loop: Header=BB21_146 Depth=3
	s_and_saveexec_b32 s10, s0
	s_cbranch_execz .LBB21_220
; %bb.148:                              ;   in Loop: Header=BB21_146 Depth=3
	v_cmp_gt_i32_e32 vcc_lo, v23, v25
	s_mov_b32 s2, 0
	s_cbranch_vccnz .LBB21_152
; %bb.149:                              ;   in Loop: Header=BB21_146 Depth=3
	v_ashrrev_i32_e32 v24, 31, v23
	v_mov_b32_e32 v2, v23
	s_mov_b32 s3, -1
	s_delay_alu instid0(VALU_DEP_2)
	v_mov_b32_e32 v3, v24
	v_mov_b32_e32 v1, v23
	s_cbranch_execz .LBB21_153
; %bb.150:                              ;   in Loop: Header=BB21_146 Depth=3
	s_and_b32 vcc_lo, exec_lo, s3
	s_cbranch_vccz .LBB21_158
.LBB21_151:                             ;   in Loop: Header=BB21_146 Depth=3
	ds_store_2addr_b32 v8, v1, v23 offset0:5 offset1:7
	s_cbranch_execz .LBB21_159
	s_branch .LBB21_160
.LBB21_152:                             ;   in Loop: Header=BB21_146 Depth=3
	s_mov_b32 s3, 0
                                        ; implicit-def: $vgpr2_vgpr3
	v_mov_b32_e32 v1, v23
.LBB21_153:                             ;   in Loop: Header=BB21_146 Depth=3
	v_ashrrev_i32_e32 v24, 31, v23
	v_mov_b32_e32 v7, v23
	s_delay_alu instid0(VALU_DEP_2) | instskip(NEXT) | instid1(VALU_DEP_1)
	v_lshlrev_b64 v[3:4], 3, v[23:24]
	v_add_co_u32 v1, vcc_lo, s101, v3
	s_delay_alu instid0(VALU_DEP_2)
	v_add_co_ci_u32_e32 v2, vcc_lo, s102, v4, vcc_lo
	v_add_co_u32 v3, vcc_lo, s92, v3
	v_add_co_ci_u32_e32 v4, vcc_lo, s93, v4, vcc_lo
	s_branch .LBB21_155
	.p2align	6
.LBB21_154:                             ;   in Loop: Header=BB21_155 Depth=4
	v_add_nc_u32_e32 v7, -1, v58
	v_add_co_u32 v1, vcc_lo, v1, -8
	v_add_co_ci_u32_e32 v2, vcc_lo, -1, v2, vcc_lo
	s_delay_alu instid0(VALU_DEP_3) | instskip(SKIP_2) | instid1(VALU_DEP_2)
	v_cmp_le_i32_e64 s3, v7, v25
	s_mov_b32 s2, 0
	v_dual_mov_b32 v3, v9 :: v_dual_mov_b32 v4, v10
	s_and_not1_b32 vcc_lo, exec_lo, s3
	s_cbranch_vccz .LBB21_157
.LBB21_155:                             ;   Parent Loop BB21_7 Depth=1
                                        ;     Parent Loop BB21_40 Depth=2
                                        ;       Parent Loop BB21_146 Depth=3
                                        ; =>      This Inner Loop Header: Depth=4
	global_load_b128 v[9:12], v[1:2], off
	global_load_b64 v[27:28], v[3:4], off offset:-8
	v_mov_b32_e32 v58, v7
	s_waitcnt vmcnt(1)
	v_mul_f64 v[9:10], v[11:12], v[9:10]
	s_waitcnt vmcnt(0)
	v_mul_f64 v[11:12], v[27:28], v[27:28]
	s_delay_alu instid0(VALU_DEP_2) | instskip(NEXT) | instid1(VALU_DEP_1)
	v_mul_f64 v[9:10], v[5:6], |v[9:10]|
	v_cmp_le_f64_e64 s2, |v[11:12]|, v[9:10]
	v_add_co_u32 v9, vcc_lo, v3, -8
	v_add_co_ci_u32_e32 v10, vcc_lo, -1, v4, vcc_lo
	s_delay_alu instid0(VALU_DEP_3)
	s_and_b32 vcc_lo, exec_lo, s2
	s_cbranch_vccz .LBB21_154
; %bb.156:                              ;   in Loop: Header=BB21_146 Depth=3
	s_mov_b32 s2, -1
                                        ; implicit-def: $vgpr7
                                        ; implicit-def: $vgpr1_vgpr2
	s_delay_alu instid0(VALU_DEP_1)
	v_dual_mov_b32 v3, v9 :: v_dual_mov_b32 v4, v10
.LBB21_157:                             ;   in Loop: Header=BB21_146 Depth=3
	v_dual_mov_b32 v1, v25 :: v_dual_mov_b32 v2, v23
	v_dual_mov_b32 v11, v23 :: v_dual_mov_b32 v12, v24
	v_mov_b32_e32 v3, v24
	s_xor_b32 s3, s2, -1
	s_mov_b32 s2, -1
	s_and_b32 vcc_lo, exec_lo, s3
	s_cbranch_vccnz .LBB21_151
.LBB21_158:                             ;   in Loop: Header=BB21_146 Depth=3
                                        ; implicit-def: $vgpr1
                                        ; implicit-def: $vgpr2_vgpr3
	s_and_not1_b32 vcc_lo, exec_lo, s2
	s_cbranch_vccnz .LBB21_160
.LBB21_159:                             ;   in Loop: Header=BB21_146 Depth=3
	v_dual_mov_b32 v7, v8 :: v_dual_mov_b32 v2, v11
	v_mov_b32_e32 v3, v12
	v_mov_b32_e32 v1, v58
	ds_store_2addr_b32 v8, v58, v23 offset0:5 offset1:7
	global_store_b64 v[9:10], v[7:8], off
.LBB21_160:                             ;   in Loop: Header=BB21_146 Depth=3
	v_lshlrev_b64 v[27:28], 3, v[2:3]
	v_add_nc_u32_e32 v2, -1, v23
	s_mov_b32 s2, exec_lo
	s_delay_alu instid0(VALU_DEP_2) | instskip(NEXT) | instid1(VALU_DEP_3)
	v_add_co_u32 v24, vcc_lo, s38, v27
	v_add_co_ci_u32_e32 v25, vcc_lo, s39, v28, vcc_lo
	global_load_b64 v[35:36], v[24:25], off
	s_waitcnt vmcnt(0)
	ds_store_b64 v8, v[35:36]
	v_cmpx_ne_u32_e64 v1, v23
	s_xor_b32 s21, exec_lo, s2
	s_cbranch_execz .LBB21_217
; %bb.161:                              ;   in Loop: Header=BB21_146 Depth=3
	s_mov_b32 s2, exec_lo
	v_cmpx_ne_u32_e64 v1, v2
	s_xor_b32 s58, exec_lo, s2
	s_cbranch_execz .LBB21_189
; %bb.162:                              ;   in Loop: Header=BB21_146 Depth=3
	v_add_co_u32 v3, vcc_lo, s90, v27
	v_add_co_ci_u32_e32 v4, vcc_lo, s91, v28, vcc_lo
	s_mov_b32 s59, exec_lo
	global_load_b64 v[27:28], v[24:25], off offset:-8
	global_load_b64 v[29:30], v[3:4], off
	s_waitcnt vmcnt(1)
	v_add_f64 v[27:28], v[27:28], -v[35:36]
	s_waitcnt vmcnt(0)
	v_add_f64 v[31:32], v[29:30], v[29:30]
	s_delay_alu instid0(VALU_DEP_1) | instskip(SKIP_1) | instid1(VALU_DEP_2)
	v_div_scale_f64 v[33:34], null, v[31:32], v[31:32], v[27:28]
	v_div_scale_f64 v[41:42], vcc_lo, v[27:28], v[31:32], v[27:28]
	v_rcp_f64_e32 v[37:38], v[33:34]
	s_waitcnt_depctr 0xfff
	v_fma_f64 v[39:40], -v[33:34], v[37:38], 1.0
	s_delay_alu instid0(VALU_DEP_1) | instskip(NEXT) | instid1(VALU_DEP_1)
	v_fma_f64 v[37:38], v[37:38], v[39:40], v[37:38]
	v_fma_f64 v[39:40], -v[33:34], v[37:38], 1.0
	s_delay_alu instid0(VALU_DEP_1) | instskip(NEXT) | instid1(VALU_DEP_1)
	v_fma_f64 v[37:38], v[37:38], v[39:40], v[37:38]
	v_mul_f64 v[39:40], v[41:42], v[37:38]
	s_delay_alu instid0(VALU_DEP_1) | instskip(NEXT) | instid1(VALU_DEP_1)
	v_fma_f64 v[33:34], -v[33:34], v[39:40], v[41:42]
	v_div_fmas_f64 v[33:34], v[33:34], v[37:38], v[39:40]
	s_delay_alu instid0(VALU_DEP_1) | instskip(NEXT) | instid1(VALU_DEP_1)
	v_div_fixup_f64 v[27:28], v[33:34], v[31:32], v[27:28]
	v_fma_f64 v[31:32], v[27:28], v[27:28], 1.0
	s_delay_alu instid0(VALU_DEP_1) | instskip(SKIP_1) | instid1(VALU_DEP_1)
	v_cmp_gt_f64_e32 vcc_lo, 0x10000000, v[31:32]
	v_cndmask_b32_e64 v2, 0, 1, vcc_lo
	v_lshlrev_b32_e32 v2, 8, v2
	s_delay_alu instid0(VALU_DEP_1) | instskip(SKIP_1) | instid1(VALU_DEP_2)
	v_ldexp_f64 v[31:32], v[31:32], v2
	v_cndmask_b32_e64 v2, 0, 0xffffff80, vcc_lo
	v_rsq_f64_e32 v[33:34], v[31:32]
	v_cmp_class_f64_e64 vcc_lo, v[31:32], 0x260
	s_waitcnt_depctr 0xfff
	v_mul_f64 v[37:38], v[31:32], v[33:34]
	v_mul_f64 v[33:34], v[33:34], 0.5
	s_delay_alu instid0(VALU_DEP_1) | instskip(NEXT) | instid1(VALU_DEP_1)
	v_fma_f64 v[39:40], -v[33:34], v[37:38], 0.5
	v_fma_f64 v[37:38], v[37:38], v[39:40], v[37:38]
	v_fma_f64 v[33:34], v[33:34], v[39:40], v[33:34]
	s_delay_alu instid0(VALU_DEP_2) | instskip(NEXT) | instid1(VALU_DEP_1)
	v_fma_f64 v[39:40], -v[37:38], v[37:38], v[31:32]
	v_fma_f64 v[37:38], v[39:40], v[33:34], v[37:38]
	s_delay_alu instid0(VALU_DEP_1) | instskip(NEXT) | instid1(VALU_DEP_1)
	v_fma_f64 v[39:40], -v[37:38], v[37:38], v[31:32]
	v_fma_f64 v[33:34], v[39:40], v[33:34], v[37:38]
	s_delay_alu instid0(VALU_DEP_1) | instskip(NEXT) | instid1(VALU_DEP_1)
	v_ldexp_f64 v[33:34], v[33:34], v2
	v_dual_cndmask_b32 v31, v33, v31 :: v_dual_cndmask_b32 v2, v34, v32
	v_cmp_nle_f64_e32 vcc_lo, 0, v[27:28]
	s_delay_alu instid0(VALU_DEP_2) | instskip(SKIP_1) | instid1(VALU_DEP_1)
	v_and_b32_e32 v7, 0x7fffffff, v2
	v_or_b32_e32 v2, 0x80000000, v2
	v_cndmask_b32_e32 v32, v7, v2, vcc_lo
	v_ashrrev_i32_e32 v2, 31, v1
	v_mov_b32_e32 v7, v8
	s_delay_alu instid0(VALU_DEP_3) | instskip(NEXT) | instid1(VALU_DEP_3)
	v_add_f64 v[27:28], v[27:28], v[31:32]
	v_lshlrev_b64 v[37:38], 3, v[1:2]
	v_add_nc_u32_e32 v2, 1, v26
	s_delay_alu instid0(VALU_DEP_2) | instskip(NEXT) | instid1(VALU_DEP_3)
	v_add_co_u32 v33, vcc_lo, s38, v37
	v_add_co_ci_u32_e32 v34, vcc_lo, s39, v38, vcc_lo
	global_load_b64 v[39:40], v[33:34], off
	ds_store_b32 v8, v2 offset:36
	ds_store_b64 v8, v[7:8]
	v_div_scale_f64 v[31:32], null, v[27:28], v[27:28], v[29:30]
	s_delay_alu instid0(VALU_DEP_1) | instskip(SKIP_2) | instid1(VALU_DEP_1)
	v_rcp_f64_e32 v[41:42], v[31:32]
	s_waitcnt_depctr 0xfff
	v_fma_f64 v[43:44], -v[31:32], v[41:42], 1.0
	v_fma_f64 v[41:42], v[41:42], v[43:44], v[41:42]
	s_delay_alu instid0(VALU_DEP_1) | instskip(NEXT) | instid1(VALU_DEP_1)
	v_fma_f64 v[43:44], -v[31:32], v[41:42], 1.0
	v_fma_f64 v[41:42], v[41:42], v[43:44], v[41:42]
	v_div_scale_f64 v[43:44], vcc_lo, v[29:30], v[27:28], v[29:30]
	s_delay_alu instid0(VALU_DEP_1) | instskip(NEXT) | instid1(VALU_DEP_1)
	v_mul_f64 v[45:46], v[43:44], v[41:42]
	v_fma_f64 v[31:32], -v[31:32], v[45:46], v[43:44]
	s_delay_alu instid0(VALU_DEP_1) | instskip(SKIP_2) | instid1(VALU_DEP_2)
	v_div_fmas_f64 v[31:32], v[31:32], v[41:42], v[45:46]
	s_waitcnt vmcnt(0)
	v_add_f64 v[41:42], v[39:40], -v[35:36]
	v_div_fixup_f64 v[27:28], v[31:32], v[27:28], v[29:30]
	v_mov_b32_e32 v29, 0
	v_mov_b32_e32 v30, 0
	s_delay_alu instid0(VALU_DEP_3)
	v_add_f64 v[27:28], v[41:42], v[27:28]
	v_cmpx_lt_i32_e64 v1, v23
	s_cbranch_execz .LBB21_188
; %bb.163:                              ;   in Loop: Header=BB21_146 Depth=3
	v_add_co_u32 v29, vcc_lo, s86, v37
	v_add_co_ci_u32_e32 v30, vcc_lo, s87, v38, vcc_lo
	v_mov_b32_e32 v31, 0
	v_dual_mov_b32 v32, 0x3ff00000 :: v_dual_mov_b32 v43, 0
	global_load_b64 v[35:36], v[29:30], off
	v_mov_b32_e32 v44, 0
	s_mov_b32 s2, exec_lo
	s_waitcnt vmcnt(0)
	v_cmpx_neq_f64_e32 0, v[35:36]
	s_cbranch_execz .LBB21_171
; %bb.164:                              ;   in Loop: Header=BB21_146 Depth=3
	v_mov_b32_e32 v43, 0
	v_dual_mov_b32 v44, 0x3ff00000 :: v_dual_mov_b32 v31, 0
	v_mov_b32_e32 v32, 0
	s_mov_b32 s3, exec_lo
	v_cmpx_neq_f64_e32 0, v[27:28]
	s_cbranch_execz .LBB21_170
; %bb.165:                              ;   in Loop: Header=BB21_146 Depth=3
	v_cmp_ngt_f64_e64 s52, |v[35:36]|, |v[27:28]|
                                        ; implicit-def: $vgpr43_vgpr44
                                        ; implicit-def: $vgpr31_vgpr32
	s_delay_alu instid0(VALU_DEP_1) | instskip(NEXT) | instid1(SALU_CYCLE_1)
	s_and_saveexec_b32 s53, s52
	s_xor_b32 s52, exec_lo, s53
	s_cbranch_execz .LBB21_167
; %bb.166:                              ;   in Loop: Header=BB21_146 Depth=3
	v_div_scale_f64 v[29:30], null, v[27:28], v[27:28], -v[35:36]
	v_div_scale_f64 v[43:44], vcc_lo, -v[35:36], v[27:28], -v[35:36]
	s_delay_alu instid0(VALU_DEP_2) | instskip(SKIP_2) | instid1(VALU_DEP_1)
	v_rcp_f64_e32 v[31:32], v[29:30]
	s_waitcnt_depctr 0xfff
	v_fma_f64 v[41:42], -v[29:30], v[31:32], 1.0
	v_fma_f64 v[31:32], v[31:32], v[41:42], v[31:32]
	s_delay_alu instid0(VALU_DEP_1) | instskip(NEXT) | instid1(VALU_DEP_1)
	v_fma_f64 v[41:42], -v[29:30], v[31:32], 1.0
	v_fma_f64 v[31:32], v[31:32], v[41:42], v[31:32]
	s_delay_alu instid0(VALU_DEP_1) | instskip(NEXT) | instid1(VALU_DEP_1)
	v_mul_f64 v[41:42], v[43:44], v[31:32]
	v_fma_f64 v[29:30], -v[29:30], v[41:42], v[43:44]
	s_delay_alu instid0(VALU_DEP_1) | instskip(NEXT) | instid1(VALU_DEP_1)
	v_div_fmas_f64 v[29:30], v[29:30], v[31:32], v[41:42]
	v_div_fixup_f64 v[26:27], v[29:30], v[27:28], -v[35:36]
	s_delay_alu instid0(VALU_DEP_1) | instskip(NEXT) | instid1(VALU_DEP_1)
	v_fma_f64 v[28:29], v[26:27], v[26:27], 1.0
	v_cmp_gt_f64_e32 vcc_lo, 0x10000000, v[28:29]
	v_cndmask_b32_e64 v2, 0, 1, vcc_lo
	s_delay_alu instid0(VALU_DEP_1) | instskip(NEXT) | instid1(VALU_DEP_1)
	v_lshlrev_b32_e32 v2, 8, v2
	v_ldexp_f64 v[28:29], v[28:29], v2
	v_cndmask_b32_e64 v2, 0, 0xffffff80, vcc_lo
	s_delay_alu instid0(VALU_DEP_2) | instskip(SKIP_4) | instid1(VALU_DEP_1)
	v_rsq_f64_e32 v[30:31], v[28:29]
	v_cmp_class_f64_e64 vcc_lo, v[28:29], 0x260
	s_waitcnt_depctr 0xfff
	v_mul_f64 v[41:42], v[28:29], v[30:31]
	v_mul_f64 v[30:31], v[30:31], 0.5
	v_fma_f64 v[43:44], -v[30:31], v[41:42], 0.5
	s_delay_alu instid0(VALU_DEP_1) | instskip(SKIP_1) | instid1(VALU_DEP_2)
	v_fma_f64 v[41:42], v[41:42], v[43:44], v[41:42]
	v_fma_f64 v[30:31], v[30:31], v[43:44], v[30:31]
	v_fma_f64 v[43:44], -v[41:42], v[41:42], v[28:29]
	s_delay_alu instid0(VALU_DEP_1) | instskip(NEXT) | instid1(VALU_DEP_1)
	v_fma_f64 v[41:42], v[43:44], v[30:31], v[41:42]
	v_fma_f64 v[43:44], -v[41:42], v[41:42], v[28:29]
	s_delay_alu instid0(VALU_DEP_1) | instskip(NEXT) | instid1(VALU_DEP_1)
	v_fma_f64 v[30:31], v[43:44], v[30:31], v[41:42]
	v_ldexp_f64 v[30:31], v[30:31], v2
	s_delay_alu instid0(VALU_DEP_1) | instskip(NEXT) | instid1(VALU_DEP_1)
	v_dual_cndmask_b32 v29, v31, v29 :: v_dual_cndmask_b32 v28, v30, v28
	v_div_scale_f64 v[30:31], null, v[28:29], v[28:29], 1.0
	s_delay_alu instid0(VALU_DEP_1) | instskip(SKIP_2) | instid1(VALU_DEP_1)
	v_rcp_f64_e32 v[41:42], v[30:31]
	s_waitcnt_depctr 0xfff
	v_fma_f64 v[43:44], -v[30:31], v[41:42], 1.0
	v_fma_f64 v[41:42], v[41:42], v[43:44], v[41:42]
	s_delay_alu instid0(VALU_DEP_1) | instskip(NEXT) | instid1(VALU_DEP_1)
	v_fma_f64 v[43:44], -v[30:31], v[41:42], 1.0
	v_fma_f64 v[41:42], v[41:42], v[43:44], v[41:42]
	v_div_scale_f64 v[43:44], vcc_lo, 1.0, v[28:29], 1.0
	s_delay_alu instid0(VALU_DEP_1) | instskip(NEXT) | instid1(VALU_DEP_1)
	v_mul_f64 v[45:46], v[43:44], v[41:42]
	v_fma_f64 v[30:31], -v[30:31], v[45:46], v[43:44]
	s_delay_alu instid0(VALU_DEP_1) | instskip(NEXT) | instid1(VALU_DEP_1)
	v_div_fmas_f64 v[30:31], v[30:31], v[41:42], v[45:46]
	v_div_fixup_f64 v[31:32], v[30:31], v[28:29], 1.0
	s_delay_alu instid0(VALU_DEP_1)
	v_mul_f64 v[43:44], v[26:27], v[31:32]
                                        ; implicit-def: $vgpr27_vgpr28
.LBB21_167:                             ;   in Loop: Header=BB21_146 Depth=3
	s_and_not1_saveexec_b32 s52, s52
	s_cbranch_execz .LBB21_169
; %bb.168:                              ;   in Loop: Header=BB21_146 Depth=3
	v_div_scale_f64 v[29:30], null, v[35:36], v[35:36], -v[27:28]
	v_div_scale_f64 v[43:44], vcc_lo, -v[27:28], v[35:36], -v[27:28]
	s_delay_alu instid0(VALU_DEP_2) | instskip(SKIP_2) | instid1(VALU_DEP_1)
	v_rcp_f64_e32 v[31:32], v[29:30]
	s_waitcnt_depctr 0xfff
	v_fma_f64 v[41:42], -v[29:30], v[31:32], 1.0
	v_fma_f64 v[31:32], v[31:32], v[41:42], v[31:32]
	s_delay_alu instid0(VALU_DEP_1) | instskip(NEXT) | instid1(VALU_DEP_1)
	v_fma_f64 v[41:42], -v[29:30], v[31:32], 1.0
	v_fma_f64 v[31:32], v[31:32], v[41:42], v[31:32]
	s_delay_alu instid0(VALU_DEP_1) | instskip(NEXT) | instid1(VALU_DEP_1)
	v_mul_f64 v[41:42], v[43:44], v[31:32]
	v_fma_f64 v[29:30], -v[29:30], v[41:42], v[43:44]
	s_delay_alu instid0(VALU_DEP_1) | instskip(NEXT) | instid1(VALU_DEP_1)
	v_div_fmas_f64 v[29:30], v[29:30], v[31:32], v[41:42]
	v_div_fixup_f64 v[26:27], v[29:30], v[35:36], -v[27:28]
	s_delay_alu instid0(VALU_DEP_1) | instskip(NEXT) | instid1(VALU_DEP_1)
	v_fma_f64 v[28:29], v[26:27], v[26:27], 1.0
	v_cmp_gt_f64_e32 vcc_lo, 0x10000000, v[28:29]
	v_cndmask_b32_e64 v2, 0, 1, vcc_lo
	s_delay_alu instid0(VALU_DEP_1) | instskip(NEXT) | instid1(VALU_DEP_1)
	v_lshlrev_b32_e32 v2, 8, v2
	v_ldexp_f64 v[28:29], v[28:29], v2
	v_cndmask_b32_e64 v2, 0, 0xffffff80, vcc_lo
	s_delay_alu instid0(VALU_DEP_2) | instskip(SKIP_4) | instid1(VALU_DEP_1)
	v_rsq_f64_e32 v[30:31], v[28:29]
	v_cmp_class_f64_e64 vcc_lo, v[28:29], 0x260
	s_waitcnt_depctr 0xfff
	v_mul_f64 v[41:42], v[28:29], v[30:31]
	v_mul_f64 v[30:31], v[30:31], 0.5
	v_fma_f64 v[43:44], -v[30:31], v[41:42], 0.5
	s_delay_alu instid0(VALU_DEP_1) | instskip(SKIP_1) | instid1(VALU_DEP_2)
	v_fma_f64 v[41:42], v[41:42], v[43:44], v[41:42]
	v_fma_f64 v[30:31], v[30:31], v[43:44], v[30:31]
	v_fma_f64 v[43:44], -v[41:42], v[41:42], v[28:29]
	s_delay_alu instid0(VALU_DEP_1) | instskip(NEXT) | instid1(VALU_DEP_1)
	v_fma_f64 v[41:42], v[43:44], v[30:31], v[41:42]
	v_fma_f64 v[43:44], -v[41:42], v[41:42], v[28:29]
	s_delay_alu instid0(VALU_DEP_1) | instskip(NEXT) | instid1(VALU_DEP_1)
	v_fma_f64 v[30:31], v[43:44], v[30:31], v[41:42]
	v_ldexp_f64 v[30:31], v[30:31], v2
	s_delay_alu instid0(VALU_DEP_1) | instskip(NEXT) | instid1(VALU_DEP_1)
	v_dual_cndmask_b32 v29, v31, v29 :: v_dual_cndmask_b32 v28, v30, v28
	v_div_scale_f64 v[30:31], null, v[28:29], v[28:29], 1.0
	s_delay_alu instid0(VALU_DEP_1) | instskip(SKIP_2) | instid1(VALU_DEP_1)
	v_rcp_f64_e32 v[41:42], v[30:31]
	s_waitcnt_depctr 0xfff
	v_fma_f64 v[43:44], -v[30:31], v[41:42], 1.0
	v_fma_f64 v[41:42], v[41:42], v[43:44], v[41:42]
	s_delay_alu instid0(VALU_DEP_1) | instskip(NEXT) | instid1(VALU_DEP_1)
	v_fma_f64 v[43:44], -v[30:31], v[41:42], 1.0
	v_fma_f64 v[41:42], v[41:42], v[43:44], v[41:42]
	v_div_scale_f64 v[43:44], vcc_lo, 1.0, v[28:29], 1.0
	s_delay_alu instid0(VALU_DEP_1) | instskip(NEXT) | instid1(VALU_DEP_1)
	v_mul_f64 v[45:46], v[43:44], v[41:42]
	v_fma_f64 v[30:31], -v[30:31], v[45:46], v[43:44]
	s_delay_alu instid0(VALU_DEP_1) | instskip(NEXT) | instid1(VALU_DEP_1)
	v_div_fmas_f64 v[30:31], v[30:31], v[41:42], v[45:46]
	v_div_fixup_f64 v[43:44], v[30:31], v[28:29], 1.0
	s_delay_alu instid0(VALU_DEP_1)
	v_mul_f64 v[31:32], v[26:27], v[43:44]
.LBB21_169:                             ;   in Loop: Header=BB21_146 Depth=3
	s_or_b32 exec_lo, exec_lo, s52
.LBB21_170:                             ;   in Loop: Header=BB21_146 Depth=3
	s_delay_alu instid0(SALU_CYCLE_1)
	s_or_b32 exec_lo, exec_lo, s3
.LBB21_171:                             ;   in Loop: Header=BB21_146 Depth=3
	s_delay_alu instid0(SALU_CYCLE_1)
	s_or_b32 exec_lo, exec_lo, s2
	global_load_b64 v[26:27], v[33:34], off offset:8
	v_add_f64 v[28:29], v[31:32], v[31:32]
	s_mov_b32 s60, exec_lo
	s_waitcnt vmcnt(0)
	v_add_f64 v[26:27], v[26:27], -v[39:40]
	s_delay_alu instid0(VALU_DEP_1) | instskip(NEXT) | instid1(VALU_DEP_1)
	v_mul_f64 v[26:27], v[43:44], v[26:27]
	v_fma_f64 v[26:27], v[35:36], v[28:29], -v[26:27]
	s_delay_alu instid0(VALU_DEP_1)
	v_mul_f64 v[29:30], v[26:27], -v[43:44]
	v_fma_f64 v[39:40], v[26:27], -v[43:44], v[39:40]
	v_fma_f64 v[27:28], v[31:32], v[26:27], -v[35:36]
	v_add_co_u32 v36, vcc_lo, s40, v37
	v_add_co_ci_u32_e32 v37, vcc_lo, s41, v38, vcc_lo
	v_xor_b32_e32 v44, 0x80000000, v44
	v_add_nc_u32_e32 v35, 1, v1
	s_delay_alu instid0(VALU_DEP_4) | instskip(NEXT) | instid1(VALU_DEP_4)
	v_add_co_u32 v41, vcc_lo, v36, s44
	v_add_co_ci_u32_e32 v42, vcc_lo, s45, v37, vcc_lo
	ds_store_b64 v8, v[29:30]
	global_store_b64 v[33:34], v[39:40], off
	s_clause 0x1
	global_store_b64 v[36:37], v[31:32], off
	global_store_b64 v[41:42], v[43:44], off offset:-8
	v_cmpx_lt_i32_e64 v35, v23
	s_cbranch_execz .LBB21_187
; %bb.172:                              ;   in Loop: Header=BB21_146 Depth=3
	v_ashrrev_i32_e32 v36, 31, v35
	s_mov_b32 s61, 1
	s_mov_b32 s103, 0
	s_mov_b64 s[2:3], s[38:39]
	s_mov_b64 s[52:53], s[50:51]
	v_lshlrev_b64 v[33:34], 3, v[35:36]
	s_mov_b64 s[54:55], s[48:49]
	s_mov_b64 s[56:57], s[40:41]
	s_branch .LBB21_174
.LBB21_173:                             ;   in Loop: Header=BB21_174 Depth=4
	v_add_co_u32 v45, vcc_lo, s2, v33
	v_add_co_ci_u32_e32 v46, vcc_lo, s3, v34, vcc_lo
	v_mul_f64 v[31:32], v[31:32], v[35:36]
	v_add_f64 v[35:36], v[41:42], v[41:42]
	s_add_i32 s61, s61, 1
	global_load_b128 v[37:40], v[45:46], off
	v_add_nc_u32_e32 v2, s61, v1
	s_waitcnt vmcnt(0)
	v_add_f64 v[26:27], v[37:38], -v[29:30]
	s_delay_alu instid0(VALU_DEP_1) | instskip(NEXT) | instid1(VALU_DEP_1)
	v_add_f64 v[28:29], v[39:40], -v[26:27]
	v_mul_f64 v[28:29], v[43:44], v[28:29]
	s_delay_alu instid0(VALU_DEP_1) | instskip(NEXT) | instid1(VALU_DEP_1)
	v_fma_f64 v[35:36], v[31:32], v[35:36], -v[28:29]
	v_fma_f64 v[37:38], v[35:36], -v[43:44], v[26:27]
	v_mul_f64 v[29:30], v[35:36], -v[43:44]
	v_fma_f64 v[27:28], v[41:42], v[35:36], -v[31:32]
	v_add_co_u32 v35, vcc_lo, s56, v33
	v_add_co_ci_u32_e32 v36, vcc_lo, s57, v34, vcc_lo
	v_add_co_u32 v39, vcc_lo, s52, v33
	s_add_u32 s56, s56, 8
	s_addc_u32 s57, s57, 0
	v_add_co_ci_u32_e32 v40, vcc_lo, s53, v34, vcc_lo
	s_add_u32 s54, s54, 8
	s_addc_u32 s55, s55, 0
	v_cmp_ge_i32_e32 vcc_lo, v2, v23
	s_add_u32 s52, s52, 8
	v_xor_b32_e32 v44, 0x80000000, v44
	v_dual_mov_b32 v31, v41 :: v_dual_mov_b32 v32, v42
	s_addc_u32 s53, s53, 0
	s_add_u32 s2, s2, 8
	s_addc_u32 s3, s3, 0
	s_or_b32 s103, vcc_lo, s103
	global_store_b64 v[45:46], v[37:38], off
	global_store_b64 v[35:36], v[41:42], off
	;; [unrolled: 1-line block ×3, first 2 shown]
	s_and_not1_b32 exec_lo, exec_lo, s103
	s_cbranch_execz .LBB21_186
.LBB21_174:                             ;   Parent Loop BB21_7 Depth=1
                                        ;     Parent Loop BB21_40 Depth=2
                                        ;       Parent Loop BB21_146 Depth=3
                                        ; =>      This Inner Loop Header: Depth=4
	s_delay_alu instid0(VALU_DEP_1) | instskip(NEXT) | instid1(VALU_DEP_2)
	v_add_co_u32 v37, vcc_lo, s54, v33
	v_add_co_ci_u32_e32 v38, vcc_lo, s55, v34, vcc_lo
	v_mov_b32_e32 v41, 0
	v_mov_b32_e32 v42, 0x3ff00000
	s_mov_b32 s104, exec_lo
	global_load_b64 v[35:36], v[37:38], off offset:8
	s_waitcnt vmcnt(0)
	v_mul_f64 v[39:40], v[43:44], v[35:36]
	v_mov_b32_e32 v43, 0
	v_mov_b32_e32 v44, 0
	s_delay_alu instid0(VALU_DEP_3)
	v_cmpx_neq_f64_e32 0, v[39:40]
	s_cbranch_execz .LBB21_184
; %bb.175:                              ;   in Loop: Header=BB21_174 Depth=4
	s_mov_b32 s73, exec_lo
                                        ; implicit-def: $vgpr43_vgpr44
                                        ; implicit-def: $vgpr41_vgpr42
	v_cmpx_neq_f64_e32 0, v[27:28]
	s_xor_b32 s73, exec_lo, s73
	s_cbranch_execz .LBB21_181
; %bb.176:                              ;   in Loop: Header=BB21_174 Depth=4
	v_cmp_ngt_f64_e64 s74, |v[39:40]|, |v[27:28]|
                                        ; implicit-def: $vgpr43_vgpr44
                                        ; implicit-def: $vgpr41_vgpr42
	s_delay_alu instid0(VALU_DEP_1) | instskip(NEXT) | instid1(SALU_CYCLE_1)
	s_and_saveexec_b32 s76, s74
	s_xor_b32 s74, exec_lo, s76
	s_cbranch_execz .LBB21_178
; %bb.177:                              ;   in Loop: Header=BB21_174 Depth=4
	v_div_scale_f64 v[41:42], null, v[27:28], v[27:28], -v[39:40]
	v_div_scale_f64 v[47:48], vcc_lo, -v[39:40], v[27:28], -v[39:40]
	s_delay_alu instid0(VALU_DEP_2) | instskip(SKIP_2) | instid1(VALU_DEP_1)
	v_rcp_f64_e32 v[43:44], v[41:42]
	s_waitcnt_depctr 0xfff
	v_fma_f64 v[45:46], -v[41:42], v[43:44], 1.0
	v_fma_f64 v[43:44], v[43:44], v[45:46], v[43:44]
	s_delay_alu instid0(VALU_DEP_1) | instskip(NEXT) | instid1(VALU_DEP_1)
	v_fma_f64 v[45:46], -v[41:42], v[43:44], 1.0
	v_fma_f64 v[43:44], v[43:44], v[45:46], v[43:44]
	s_delay_alu instid0(VALU_DEP_1) | instskip(NEXT) | instid1(VALU_DEP_1)
	v_mul_f64 v[45:46], v[47:48], v[43:44]
	v_fma_f64 v[41:42], -v[41:42], v[45:46], v[47:48]
	s_delay_alu instid0(VALU_DEP_1) | instskip(NEXT) | instid1(VALU_DEP_1)
	v_div_fmas_f64 v[41:42], v[41:42], v[43:44], v[45:46]
	v_div_fixup_f64 v[43:44], v[41:42], v[27:28], -v[39:40]
	s_delay_alu instid0(VALU_DEP_1) | instskip(NEXT) | instid1(VALU_DEP_1)
	v_fma_f64 v[41:42], v[43:44], v[43:44], 1.0
	v_cmp_gt_f64_e32 vcc_lo, 0x10000000, v[41:42]
	v_cndmask_b32_e64 v2, 0, 1, vcc_lo
	s_delay_alu instid0(VALU_DEP_1) | instskip(NEXT) | instid1(VALU_DEP_1)
	v_lshlrev_b32_e32 v2, 8, v2
	v_ldexp_f64 v[41:42], v[41:42], v2
	v_cndmask_b32_e64 v2, 0, 0xffffff80, vcc_lo
	s_delay_alu instid0(VALU_DEP_2) | instskip(SKIP_4) | instid1(VALU_DEP_1)
	v_rsq_f64_e32 v[45:46], v[41:42]
	v_cmp_class_f64_e64 vcc_lo, v[41:42], 0x260
	s_waitcnt_depctr 0xfff
	v_mul_f64 v[47:48], v[41:42], v[45:46]
	v_mul_f64 v[45:46], v[45:46], 0.5
	v_fma_f64 v[49:50], -v[45:46], v[47:48], 0.5
	s_delay_alu instid0(VALU_DEP_1) | instskip(SKIP_1) | instid1(VALU_DEP_2)
	v_fma_f64 v[47:48], v[47:48], v[49:50], v[47:48]
	v_fma_f64 v[45:46], v[45:46], v[49:50], v[45:46]
	v_fma_f64 v[49:50], -v[47:48], v[47:48], v[41:42]
	s_delay_alu instid0(VALU_DEP_1) | instskip(NEXT) | instid1(VALU_DEP_1)
	v_fma_f64 v[47:48], v[49:50], v[45:46], v[47:48]
	v_fma_f64 v[49:50], -v[47:48], v[47:48], v[41:42]
	s_delay_alu instid0(VALU_DEP_1) | instskip(NEXT) | instid1(VALU_DEP_1)
	v_fma_f64 v[45:46], v[49:50], v[45:46], v[47:48]
	v_ldexp_f64 v[45:46], v[45:46], v2
	s_delay_alu instid0(VALU_DEP_1) | instskip(NEXT) | instid1(VALU_DEP_1)
	v_dual_cndmask_b32 v41, v45, v41 :: v_dual_cndmask_b32 v42, v46, v42
	v_div_scale_f64 v[45:46], null, v[41:42], v[41:42], 1.0
	s_delay_alu instid0(VALU_DEP_1) | instskip(SKIP_2) | instid1(VALU_DEP_1)
	v_rcp_f64_e32 v[47:48], v[45:46]
	s_waitcnt_depctr 0xfff
	v_fma_f64 v[49:50], -v[45:46], v[47:48], 1.0
	v_fma_f64 v[47:48], v[47:48], v[49:50], v[47:48]
	s_delay_alu instid0(VALU_DEP_1) | instskip(NEXT) | instid1(VALU_DEP_1)
	v_fma_f64 v[49:50], -v[45:46], v[47:48], 1.0
	v_fma_f64 v[47:48], v[47:48], v[49:50], v[47:48]
	v_div_scale_f64 v[49:50], vcc_lo, 1.0, v[41:42], 1.0
	s_delay_alu instid0(VALU_DEP_1) | instskip(NEXT) | instid1(VALU_DEP_1)
	v_mul_f64 v[51:52], v[49:50], v[47:48]
	v_fma_f64 v[45:46], -v[45:46], v[51:52], v[49:50]
	s_delay_alu instid0(VALU_DEP_1) | instskip(NEXT) | instid1(VALU_DEP_1)
	v_div_fmas_f64 v[45:46], v[45:46], v[47:48], v[51:52]
	v_div_fixup_f64 v[41:42], v[45:46], v[41:42], 1.0
	s_delay_alu instid0(VALU_DEP_1)
	v_mul_f64 v[43:44], v[43:44], v[41:42]
.LBB21_178:                             ;   in Loop: Header=BB21_174 Depth=4
	s_and_not1_saveexec_b32 s74, s74
	s_cbranch_execz .LBB21_180
; %bb.179:                              ;   in Loop: Header=BB21_174 Depth=4
	v_div_scale_f64 v[41:42], null, v[39:40], v[39:40], -v[27:28]
	v_div_scale_f64 v[47:48], vcc_lo, -v[27:28], v[39:40], -v[27:28]
	s_delay_alu instid0(VALU_DEP_2) | instskip(SKIP_2) | instid1(VALU_DEP_1)
	v_rcp_f64_e32 v[43:44], v[41:42]
	s_waitcnt_depctr 0xfff
	v_fma_f64 v[45:46], -v[41:42], v[43:44], 1.0
	v_fma_f64 v[43:44], v[43:44], v[45:46], v[43:44]
	s_delay_alu instid0(VALU_DEP_1) | instskip(NEXT) | instid1(VALU_DEP_1)
	v_fma_f64 v[45:46], -v[41:42], v[43:44], 1.0
	v_fma_f64 v[43:44], v[43:44], v[45:46], v[43:44]
	s_delay_alu instid0(VALU_DEP_1) | instskip(NEXT) | instid1(VALU_DEP_1)
	v_mul_f64 v[45:46], v[47:48], v[43:44]
	v_fma_f64 v[41:42], -v[41:42], v[45:46], v[47:48]
	s_delay_alu instid0(VALU_DEP_1) | instskip(NEXT) | instid1(VALU_DEP_1)
	v_div_fmas_f64 v[41:42], v[41:42], v[43:44], v[45:46]
	v_div_fixup_f64 v[41:42], v[41:42], v[39:40], -v[27:28]
	s_delay_alu instid0(VALU_DEP_1) | instskip(NEXT) | instid1(VALU_DEP_1)
	v_fma_f64 v[43:44], v[41:42], v[41:42], 1.0
	v_cmp_gt_f64_e32 vcc_lo, 0x10000000, v[43:44]
	v_cndmask_b32_e64 v2, 0, 1, vcc_lo
	s_delay_alu instid0(VALU_DEP_1) | instskip(NEXT) | instid1(VALU_DEP_1)
	v_lshlrev_b32_e32 v2, 8, v2
	v_ldexp_f64 v[43:44], v[43:44], v2
	v_cndmask_b32_e64 v2, 0, 0xffffff80, vcc_lo
	s_delay_alu instid0(VALU_DEP_2) | instskip(SKIP_4) | instid1(VALU_DEP_1)
	v_rsq_f64_e32 v[45:46], v[43:44]
	v_cmp_class_f64_e64 vcc_lo, v[43:44], 0x260
	s_waitcnt_depctr 0xfff
	v_mul_f64 v[47:48], v[43:44], v[45:46]
	v_mul_f64 v[45:46], v[45:46], 0.5
	v_fma_f64 v[49:50], -v[45:46], v[47:48], 0.5
	s_delay_alu instid0(VALU_DEP_1) | instskip(SKIP_1) | instid1(VALU_DEP_2)
	v_fma_f64 v[47:48], v[47:48], v[49:50], v[47:48]
	v_fma_f64 v[45:46], v[45:46], v[49:50], v[45:46]
	v_fma_f64 v[49:50], -v[47:48], v[47:48], v[43:44]
	s_delay_alu instid0(VALU_DEP_1) | instskip(NEXT) | instid1(VALU_DEP_1)
	v_fma_f64 v[47:48], v[49:50], v[45:46], v[47:48]
	v_fma_f64 v[49:50], -v[47:48], v[47:48], v[43:44]
	s_delay_alu instid0(VALU_DEP_1) | instskip(NEXT) | instid1(VALU_DEP_1)
	v_fma_f64 v[45:46], v[49:50], v[45:46], v[47:48]
	v_ldexp_f64 v[45:46], v[45:46], v2
	s_delay_alu instid0(VALU_DEP_1) | instskip(NEXT) | instid1(VALU_DEP_1)
	v_dual_cndmask_b32 v43, v45, v43 :: v_dual_cndmask_b32 v44, v46, v44
	v_div_scale_f64 v[45:46], null, v[43:44], v[43:44], 1.0
	s_delay_alu instid0(VALU_DEP_1) | instskip(SKIP_2) | instid1(VALU_DEP_1)
	v_rcp_f64_e32 v[47:48], v[45:46]
	s_waitcnt_depctr 0xfff
	v_fma_f64 v[49:50], -v[45:46], v[47:48], 1.0
	v_fma_f64 v[47:48], v[47:48], v[49:50], v[47:48]
	s_delay_alu instid0(VALU_DEP_1) | instskip(NEXT) | instid1(VALU_DEP_1)
	v_fma_f64 v[49:50], -v[45:46], v[47:48], 1.0
	v_fma_f64 v[47:48], v[47:48], v[49:50], v[47:48]
	v_div_scale_f64 v[49:50], vcc_lo, 1.0, v[43:44], 1.0
	s_delay_alu instid0(VALU_DEP_1) | instskip(NEXT) | instid1(VALU_DEP_1)
	v_mul_f64 v[51:52], v[49:50], v[47:48]
	v_fma_f64 v[45:46], -v[45:46], v[51:52], v[49:50]
	s_delay_alu instid0(VALU_DEP_1) | instskip(NEXT) | instid1(VALU_DEP_1)
	v_div_fmas_f64 v[45:46], v[45:46], v[47:48], v[51:52]
	v_div_fixup_f64 v[43:44], v[45:46], v[43:44], 1.0
	s_delay_alu instid0(VALU_DEP_1)
	v_mul_f64 v[41:42], v[41:42], v[43:44]
.LBB21_180:                             ;   in Loop: Header=BB21_174 Depth=4
	s_or_b32 exec_lo, exec_lo, s74
	s_delay_alu instid0(VALU_DEP_1) | instskip(NEXT) | instid1(VALU_DEP_1)
	v_mul_f64 v[39:40], v[39:40], v[43:44]
	v_fma_f64 v[27:28], v[27:28], v[41:42], -v[39:40]
                                        ; implicit-def: $vgpr39_vgpr40
.LBB21_181:                             ;   in Loop: Header=BB21_174 Depth=4
	s_and_not1_saveexec_b32 s73, s73
; %bb.182:                              ;   in Loop: Header=BB21_174 Depth=4
	v_xor_b32_e32 v40, 0x80000000, v40
	v_mov_b32_e32 v43, 0
	v_dual_mov_b32 v44, 0x3ff00000 :: v_dual_mov_b32 v41, 0
	v_dual_mov_b32 v42, 0 :: v_dual_mov_b32 v27, v39
	s_delay_alu instid0(VALU_DEP_4)
	v_mov_b32_e32 v28, v40
; %bb.183:                              ;   in Loop: Header=BB21_174 Depth=4
	s_or_b32 exec_lo, exec_lo, s73
.LBB21_184:                             ;   in Loop: Header=BB21_174 Depth=4
	s_delay_alu instid0(SALU_CYCLE_1)
	s_or_b32 exec_lo, exec_lo, s104
	s_cmp_eq_u32 s61, 0
	s_cbranch_scc1 .LBB21_173
; %bb.185:                              ;   in Loop: Header=BB21_174 Depth=4
	global_store_b64 v[37:38], v[27:28], off
	s_branch .LBB21_173
.LBB21_186:                             ;   in Loop: Header=BB21_146 Depth=3
	s_or_b32 exec_lo, exec_lo, s103
	ds_store_b64 v8, v[29:30]
.LBB21_187:                             ;   in Loop: Header=BB21_146 Depth=3
	s_or_b32 exec_lo, exec_lo, s60
	global_load_b64 v[35:36], v[24:25], off
.LBB21_188:                             ;   in Loop: Header=BB21_146 Depth=3
	s_or_b32 exec_lo, exec_lo, s59
	s_waitcnt vmcnt(0)
	v_add_f64 v[1:2], v[35:36], -v[29:30]
                                        ; implicit-def: $vgpr23
                                        ; implicit-def: $vgpr35_vgpr36
	global_store_b64 v[24:25], v[1:2], off
	global_store_b64 v[3:4], v[27:28], off
                                        ; implicit-def: $vgpr24_vgpr25
                                        ; implicit-def: $vgpr27_vgpr28
                                        ; implicit-def: $vgpr1
.LBB21_189:                             ;   in Loop: Header=BB21_146 Depth=3
	s_and_not1_saveexec_b32 s3, s58
	s_cbranch_execz .LBB21_226
; %bb.190:                              ;   in Loop: Header=BB21_146 Depth=3
	v_ashrrev_i32_e32 v2, 31, v1
                                        ; implicit-def: $vgpr39_vgpr40
	s_delay_alu instid0(VALU_DEP_1) | instskip(NEXT) | instid1(VALU_DEP_1)
	v_lshlrev_b64 v[29:30], 3, v[1:2]
	v_add_co_u32 v1, vcc_lo, s38, v29
	s_delay_alu instid0(VALU_DEP_2)
	v_add_co_ci_u32_e32 v2, vcc_lo, s39, v30, vcc_lo
	v_add_co_u32 v3, vcc_lo, s86, v29
	v_add_co_ci_u32_e32 v4, vcc_lo, s87, v30, vcc_lo
	global_load_b64 v[1:2], v[1:2], off
	global_load_b64 v[37:38], v[3:4], off
	s_waitcnt vmcnt(1)
	v_add_f64 v[33:34], v[1:2], -v[35:36]
	s_waitcnt vmcnt(0)
	v_add_f64 v[31:32], v[37:38], v[37:38]
	s_delay_alu instid0(VALU_DEP_1) | instskip(NEXT) | instid1(VALU_DEP_1)
	v_cmp_ngt_f64_e64 s2, |v[33:34]|, |v[31:32]|
	s_and_saveexec_b32 s52, s2
	s_delay_alu instid0(SALU_CYCLE_1)
	s_xor_b32 s2, exec_lo, s52
	s_cbranch_execz .LBB21_196
; %bb.191:                              ;   in Loop: Header=BB21_146 Depth=3
	v_cmp_nlt_f64_e64 s52, |v[33:34]|, |v[31:32]|
                                        ; implicit-def: $vgpr39_vgpr40
	s_delay_alu instid0(VALU_DEP_1) | instskip(NEXT) | instid1(SALU_CYCLE_1)
	s_and_saveexec_b32 s53, s52
	s_xor_b32 s52, exec_lo, s53
; %bb.192:                              ;   in Loop: Header=BB21_146 Depth=3
	v_mul_f64 v[39:40], |v[31:32]|, s[18:19]
; %bb.193:                              ;   in Loop: Header=BB21_146 Depth=3
	s_and_not1_saveexec_b32 s52, s52
	s_cbranch_execz .LBB21_195
; %bb.194:                              ;   in Loop: Header=BB21_146 Depth=3
	v_dual_mov_b32 v3, v33 :: v_dual_and_b32 v4, 0x7fffffff, v34
	v_dual_mov_b32 v39, v31 :: v_dual_and_b32 v40, 0x7fffffff, v32
	s_delay_alu instid0(VALU_DEP_1) | instskip(SKIP_1) | instid1(VALU_DEP_2)
	v_div_scale_f64 v[41:42], null, v[39:40], v[39:40], v[3:4]
	v_div_scale_f64 v[3:4], vcc_lo, v[3:4], v[39:40], v[3:4]
	v_rcp_f64_e32 v[43:44], v[41:42]
	s_waitcnt_depctr 0xfff
	v_fma_f64 v[45:46], -v[41:42], v[43:44], 1.0
	s_delay_alu instid0(VALU_DEP_1) | instskip(NEXT) | instid1(VALU_DEP_1)
	v_fma_f64 v[43:44], v[43:44], v[45:46], v[43:44]
	v_fma_f64 v[45:46], -v[41:42], v[43:44], 1.0
	s_delay_alu instid0(VALU_DEP_1) | instskip(NEXT) | instid1(VALU_DEP_1)
	v_fma_f64 v[39:40], v[43:44], v[45:46], v[43:44]
	v_mul_f64 v[43:44], v[3:4], v[39:40]
	s_delay_alu instid0(VALU_DEP_1) | instskip(NEXT) | instid1(VALU_DEP_1)
	v_fma_f64 v[3:4], -v[41:42], v[43:44], v[3:4]
	v_div_fmas_f64 v[3:4], v[3:4], v[39:40], v[43:44]
	s_delay_alu instid0(VALU_DEP_1) | instskip(NEXT) | instid1(VALU_DEP_1)
	v_div_fixup_f64 v[3:4], v[3:4], |v[31:32]|, |v[33:34]|
	v_fma_f64 v[3:4], v[3:4], v[3:4], 1.0
	s_delay_alu instid0(VALU_DEP_1) | instskip(SKIP_1) | instid1(VALU_DEP_1)
	v_cmp_gt_f64_e32 vcc_lo, 0x10000000, v[3:4]
	v_cndmask_b32_e64 v7, 0, 1, vcc_lo
	v_lshlrev_b32_e32 v7, 8, v7
	s_delay_alu instid0(VALU_DEP_1) | instskip(SKIP_1) | instid1(VALU_DEP_2)
	v_ldexp_f64 v[3:4], v[3:4], v7
	v_cndmask_b32_e64 v7, 0, 0xffffff80, vcc_lo
	v_rsq_f64_e32 v[39:40], v[3:4]
	v_cmp_class_f64_e64 vcc_lo, v[3:4], 0x260
	s_waitcnt_depctr 0xfff
	v_mul_f64 v[41:42], v[3:4], v[39:40]
	v_mul_f64 v[39:40], v[39:40], 0.5
	s_delay_alu instid0(VALU_DEP_1) | instskip(NEXT) | instid1(VALU_DEP_1)
	v_fma_f64 v[43:44], -v[39:40], v[41:42], 0.5
	v_fma_f64 v[41:42], v[41:42], v[43:44], v[41:42]
	v_fma_f64 v[39:40], v[39:40], v[43:44], v[39:40]
	s_delay_alu instid0(VALU_DEP_2) | instskip(NEXT) | instid1(VALU_DEP_1)
	v_fma_f64 v[43:44], -v[41:42], v[41:42], v[3:4]
	v_fma_f64 v[41:42], v[43:44], v[39:40], v[41:42]
	s_delay_alu instid0(VALU_DEP_1) | instskip(NEXT) | instid1(VALU_DEP_1)
	v_fma_f64 v[43:44], -v[41:42], v[41:42], v[3:4]
	v_fma_f64 v[39:40], v[43:44], v[39:40], v[41:42]
	s_delay_alu instid0(VALU_DEP_1) | instskip(NEXT) | instid1(VALU_DEP_1)
	v_ldexp_f64 v[39:40], v[39:40], v7
	v_dual_cndmask_b32 v4, v40, v4 :: v_dual_cndmask_b32 v3, v39, v3
	s_delay_alu instid0(VALU_DEP_1)
	v_mul_f64 v[39:40], |v[31:32]|, v[3:4]
.LBB21_195:                             ;   in Loop: Header=BB21_146 Depth=3
	s_or_b32 exec_lo, exec_lo, s52
.LBB21_196:                             ;   in Loop: Header=BB21_146 Depth=3
	s_and_not1_saveexec_b32 s2, s2
	s_cbranch_execz .LBB21_198
; %bb.197:                              ;   in Loop: Header=BB21_146 Depth=3
	v_dual_mov_b32 v3, v31 :: v_dual_and_b32 v4, 0x7fffffff, v32
	v_dual_mov_b32 v39, v33 :: v_dual_and_b32 v40, 0x7fffffff, v34
	s_delay_alu instid0(VALU_DEP_1) | instskip(SKIP_1) | instid1(VALU_DEP_2)
	v_div_scale_f64 v[41:42], null, v[39:40], v[39:40], v[3:4]
	v_div_scale_f64 v[3:4], vcc_lo, v[3:4], v[39:40], v[3:4]
	v_rcp_f64_e32 v[43:44], v[41:42]
	s_waitcnt_depctr 0xfff
	v_fma_f64 v[45:46], -v[41:42], v[43:44], 1.0
	s_delay_alu instid0(VALU_DEP_1) | instskip(NEXT) | instid1(VALU_DEP_1)
	v_fma_f64 v[43:44], v[43:44], v[45:46], v[43:44]
	v_fma_f64 v[45:46], -v[41:42], v[43:44], 1.0
	s_delay_alu instid0(VALU_DEP_1) | instskip(NEXT) | instid1(VALU_DEP_1)
	v_fma_f64 v[39:40], v[43:44], v[45:46], v[43:44]
	v_mul_f64 v[43:44], v[3:4], v[39:40]
	s_delay_alu instid0(VALU_DEP_1) | instskip(NEXT) | instid1(VALU_DEP_1)
	v_fma_f64 v[3:4], -v[41:42], v[43:44], v[3:4]
	v_div_fmas_f64 v[3:4], v[3:4], v[39:40], v[43:44]
	s_delay_alu instid0(VALU_DEP_1) | instskip(NEXT) | instid1(VALU_DEP_1)
	v_div_fixup_f64 v[3:4], v[3:4], |v[33:34]|, |v[31:32]|
	v_fma_f64 v[3:4], v[3:4], v[3:4], 1.0
	s_delay_alu instid0(VALU_DEP_1) | instskip(SKIP_1) | instid1(VALU_DEP_1)
	v_cmp_gt_f64_e32 vcc_lo, 0x10000000, v[3:4]
	v_cndmask_b32_e64 v7, 0, 1, vcc_lo
	v_lshlrev_b32_e32 v7, 8, v7
	s_delay_alu instid0(VALU_DEP_1) | instskip(SKIP_1) | instid1(VALU_DEP_2)
	v_ldexp_f64 v[3:4], v[3:4], v7
	v_cndmask_b32_e64 v7, 0, 0xffffff80, vcc_lo
	v_rsq_f64_e32 v[39:40], v[3:4]
	v_cmp_class_f64_e64 vcc_lo, v[3:4], 0x260
	s_waitcnt_depctr 0xfff
	v_mul_f64 v[41:42], v[3:4], v[39:40]
	v_mul_f64 v[39:40], v[39:40], 0.5
	s_delay_alu instid0(VALU_DEP_1) | instskip(NEXT) | instid1(VALU_DEP_1)
	v_fma_f64 v[43:44], -v[39:40], v[41:42], 0.5
	v_fma_f64 v[41:42], v[41:42], v[43:44], v[41:42]
	v_fma_f64 v[39:40], v[39:40], v[43:44], v[39:40]
	s_delay_alu instid0(VALU_DEP_2) | instskip(NEXT) | instid1(VALU_DEP_1)
	v_fma_f64 v[43:44], -v[41:42], v[41:42], v[3:4]
	v_fma_f64 v[41:42], v[43:44], v[39:40], v[41:42]
	s_delay_alu instid0(VALU_DEP_1) | instskip(NEXT) | instid1(VALU_DEP_1)
	v_fma_f64 v[43:44], -v[41:42], v[41:42], v[3:4]
	v_fma_f64 v[39:40], v[43:44], v[39:40], v[41:42]
	s_delay_alu instid0(VALU_DEP_1) | instskip(NEXT) | instid1(VALU_DEP_1)
	v_ldexp_f64 v[39:40], v[39:40], v7
	v_dual_cndmask_b32 v4, v40, v4 :: v_dual_cndmask_b32 v3, v39, v3
	s_delay_alu instid0(VALU_DEP_1)
	v_mul_f64 v[39:40], |v[33:34]|, v[3:4]
.LBB21_198:                             ;   in Loop: Header=BB21_146 Depth=3
	s_or_b32 exec_lo, exec_lo, s2
	v_cmp_gt_f64_e64 vcc_lo, |v[1:2]|, |v[35:36]|
	v_add_f64 v[43:44], v[35:36], v[1:2]
	s_mov_b32 s52, exec_lo
                                        ; implicit-def: $vgpr7
                                        ; implicit-def: $vgpr3_vgpr4
	v_dual_cndmask_b32 v42, v2, v36 :: v_dual_cndmask_b32 v41, v1, v35
	v_dual_cndmask_b32 v36, v36, v2 :: v_dual_cndmask_b32 v35, v35, v1
	s_delay_alu instid0(VALU_DEP_3)
	v_cmpx_ngt_f64_e32 0, v[43:44]
	s_xor_b32 s52, exec_lo, s52
	s_cbranch_execz .LBB21_204
; %bb.199:                              ;   in Loop: Header=BB21_146 Depth=3
	s_mov_b32 s53, exec_lo
                                        ; implicit-def: $sgpr2
                                        ; implicit-def: $vgpr3_vgpr4
	v_cmpx_nlt_f64_e32 0, v[43:44]
	s_xor_b32 s53, exec_lo, s53
; %bb.200:                              ;   in Loop: Header=BB21_146 Depth=3
	v_mul_f64 v[1:2], v[39:40], 0.5
	v_mul_f64 v[3:4], v[39:40], -0.5
	s_mov_b32 s2, 1
                                        ; implicit-def: $vgpr43_vgpr44
                                        ; implicit-def: $vgpr35_vgpr36
                                        ; implicit-def: $vgpr37_vgpr38
                                        ; implicit-def: $vgpr41_vgpr42
; %bb.201:                              ;   in Loop: Header=BB21_146 Depth=3
	s_or_saveexec_b32 s53, s53
	v_mov_b32_e32 v7, s2
	s_xor_b32 exec_lo, exec_lo, s53
	s_cbranch_execz .LBB21_203
; %bb.202:                              ;   in Loop: Header=BB21_146 Depth=3
	v_add_f64 v[1:2], v[43:44], v[39:40]
	v_mov_b32_e32 v7, 1
	s_delay_alu instid0(VALU_DEP_2) | instskip(NEXT) | instid1(VALU_DEP_1)
	v_mul_f64 v[1:2], v[1:2], 0.5
	v_div_scale_f64 v[3:4], null, v[1:2], v[1:2], v[35:36]
	v_div_scale_f64 v[43:44], null, v[1:2], v[1:2], v[37:38]
	v_div_scale_f64 v[62:63], vcc_lo, v[35:36], v[1:2], v[35:36]
	s_delay_alu instid0(VALU_DEP_3) | instskip(NEXT) | instid1(VALU_DEP_2)
	v_rcp_f64_e32 v[45:46], v[3:4]
	v_rcp_f64_e32 v[47:48], v[43:44]
	s_waitcnt_depctr 0xfff
	v_fma_f64 v[49:50], -v[3:4], v[45:46], 1.0
	v_fma_f64 v[51:52], -v[43:44], v[47:48], 1.0
	s_delay_alu instid0(VALU_DEP_2) | instskip(NEXT) | instid1(VALU_DEP_2)
	v_fma_f64 v[45:46], v[45:46], v[49:50], v[45:46]
	v_fma_f64 v[47:48], v[47:48], v[51:52], v[47:48]
	s_delay_alu instid0(VALU_DEP_2) | instskip(NEXT) | instid1(VALU_DEP_2)
	v_fma_f64 v[49:50], -v[3:4], v[45:46], 1.0
	v_fma_f64 v[51:52], -v[43:44], v[47:48], 1.0
	s_delay_alu instid0(VALU_DEP_2) | instskip(SKIP_1) | instid1(VALU_DEP_3)
	v_fma_f64 v[45:46], v[45:46], v[49:50], v[45:46]
	v_div_scale_f64 v[49:50], s2, v[37:38], v[1:2], v[37:38]
	v_fma_f64 v[47:48], v[47:48], v[51:52], v[47:48]
	s_delay_alu instid0(VALU_DEP_3) | instskip(NEXT) | instid1(VALU_DEP_2)
	v_mul_f64 v[51:52], v[62:63], v[45:46]
	v_mul_f64 v[64:65], v[49:50], v[47:48]
	s_delay_alu instid0(VALU_DEP_2) | instskip(NEXT) | instid1(VALU_DEP_2)
	v_fma_f64 v[3:4], -v[3:4], v[51:52], v[62:63]
	v_fma_f64 v[43:44], -v[43:44], v[64:65], v[49:50]
	s_delay_alu instid0(VALU_DEP_2) | instskip(SKIP_1) | instid1(VALU_DEP_2)
	v_div_fmas_f64 v[3:4], v[3:4], v[45:46], v[51:52]
	s_mov_b32 vcc_lo, s2
	v_div_fmas_f64 v[43:44], v[43:44], v[47:48], v[64:65]
	s_delay_alu instid0(VALU_DEP_2) | instskip(NEXT) | instid1(VALU_DEP_2)
	v_div_fixup_f64 v[3:4], v[3:4], v[1:2], v[35:36]
	v_div_fixup_f64 v[43:44], v[43:44], v[1:2], v[37:38]
	s_delay_alu instid0(VALU_DEP_1) | instskip(NEXT) | instid1(VALU_DEP_1)
	v_mul_f64 v[35:36], v[37:38], v[43:44]
	v_fma_f64 v[3:4], v[41:42], v[3:4], -v[35:36]
.LBB21_203:                             ;   in Loop: Header=BB21_146 Depth=3
	s_or_b32 exec_lo, exec_lo, s53
                                        ; implicit-def: $vgpr43_vgpr44
                                        ; implicit-def: $vgpr35_vgpr36
                                        ; implicit-def: $vgpr37_vgpr38
                                        ; implicit-def: $vgpr41_vgpr42
.LBB21_204:                             ;   in Loop: Header=BB21_146 Depth=3
	s_and_not1_saveexec_b32 s52, s52
	s_cbranch_execz .LBB21_206
; %bb.205:                              ;   in Loop: Header=BB21_146 Depth=3
	v_add_f64 v[1:2], v[43:44], -v[39:40]
	v_mov_b32_e32 v7, -1
	s_delay_alu instid0(VALU_DEP_2) | instskip(NEXT) | instid1(VALU_DEP_1)
	v_mul_f64 v[1:2], v[1:2], 0.5
	v_div_scale_f64 v[3:4], null, v[1:2], v[1:2], v[35:36]
	v_div_scale_f64 v[43:44], null, v[1:2], v[1:2], v[37:38]
	v_div_scale_f64 v[62:63], vcc_lo, v[35:36], v[1:2], v[35:36]
	s_delay_alu instid0(VALU_DEP_3) | instskip(NEXT) | instid1(VALU_DEP_2)
	v_rcp_f64_e32 v[45:46], v[3:4]
	v_rcp_f64_e32 v[47:48], v[43:44]
	s_waitcnt_depctr 0xfff
	v_fma_f64 v[49:50], -v[3:4], v[45:46], 1.0
	v_fma_f64 v[51:52], -v[43:44], v[47:48], 1.0
	s_delay_alu instid0(VALU_DEP_2) | instskip(NEXT) | instid1(VALU_DEP_2)
	v_fma_f64 v[45:46], v[45:46], v[49:50], v[45:46]
	v_fma_f64 v[47:48], v[47:48], v[51:52], v[47:48]
	s_delay_alu instid0(VALU_DEP_2) | instskip(NEXT) | instid1(VALU_DEP_2)
	v_fma_f64 v[49:50], -v[3:4], v[45:46], 1.0
	v_fma_f64 v[51:52], -v[43:44], v[47:48], 1.0
	s_delay_alu instid0(VALU_DEP_2) | instskip(SKIP_1) | instid1(VALU_DEP_3)
	v_fma_f64 v[45:46], v[45:46], v[49:50], v[45:46]
	v_div_scale_f64 v[49:50], s2, v[37:38], v[1:2], v[37:38]
	v_fma_f64 v[47:48], v[47:48], v[51:52], v[47:48]
	s_delay_alu instid0(VALU_DEP_3) | instskip(NEXT) | instid1(VALU_DEP_2)
	v_mul_f64 v[51:52], v[62:63], v[45:46]
	v_mul_f64 v[64:65], v[49:50], v[47:48]
	s_delay_alu instid0(VALU_DEP_2) | instskip(NEXT) | instid1(VALU_DEP_2)
	v_fma_f64 v[3:4], -v[3:4], v[51:52], v[62:63]
	v_fma_f64 v[43:44], -v[43:44], v[64:65], v[49:50]
	s_delay_alu instid0(VALU_DEP_2) | instskip(SKIP_1) | instid1(VALU_DEP_2)
	v_div_fmas_f64 v[3:4], v[3:4], v[45:46], v[51:52]
	s_mov_b32 vcc_lo, s2
	v_div_fmas_f64 v[43:44], v[43:44], v[47:48], v[64:65]
	s_delay_alu instid0(VALU_DEP_2) | instskip(NEXT) | instid1(VALU_DEP_2)
	v_div_fixup_f64 v[3:4], v[3:4], v[1:2], v[35:36]
	v_div_fixup_f64 v[43:44], v[43:44], v[1:2], v[37:38]
	s_delay_alu instid0(VALU_DEP_1) | instskip(NEXT) | instid1(VALU_DEP_1)
	v_mul_f64 v[35:36], v[37:38], v[43:44]
	v_fma_f64 v[3:4], v[41:42], v[3:4], -v[35:36]
.LBB21_206:                             ;   in Loop: Header=BB21_146 Depth=3
	s_or_b32 exec_lo, exec_lo, s52
	s_delay_alu instid0(SALU_CYCLE_1)
	s_mov_b32 s52, exec_lo
                                        ; implicit-def: $vgpr35_vgpr36
                                        ; implicit-def: $sgpr2
	v_cmpx_le_f64_e32 0, v[33:34]
	s_xor_b32 s52, exec_lo, s52
; %bb.207:                              ;   in Loop: Header=BB21_146 Depth=3
	v_add_f64 v[35:36], v[33:34], v[39:40]
	s_mov_b32 s2, 1
                                        ; implicit-def: $vgpr33_vgpr34
                                        ; implicit-def: $vgpr39_vgpr40
; %bb.208:                              ;   in Loop: Header=BB21_146 Depth=3
	s_or_saveexec_b32 s52, s52
	v_mov_b32_e32 v26, s2
	s_xor_b32 exec_lo, exec_lo, s52
; %bb.209:                              ;   in Loop: Header=BB21_146 Depth=3
	v_add_f64 v[35:36], v[33:34], -v[39:40]
	v_mov_b32_e32 v26, -1
; %bb.210:                              ;   in Loop: Header=BB21_146 Depth=3
	s_or_b32 exec_lo, exec_lo, s52
	s_delay_alu instid0(VALU_DEP_2) | instskip(NEXT) | instid1(VALU_DEP_1)
	v_cmp_ngt_f64_e64 s2, |v[35:36]|, |v[31:32]|
                                        ; implicit-def: $vgpr33_vgpr34
                                        ; implicit-def: $vgpr37_vgpr38
	s_and_saveexec_b32 s52, s2
	s_delay_alu instid0(SALU_CYCLE_1)
	s_xor_b32 s2, exec_lo, s52
	s_cbranch_execz .LBB21_214
; %bb.211:                              ;   in Loop: Header=BB21_146 Depth=3
	v_mov_b32_e32 v33, 0
	v_dual_mov_b32 v34, 0 :: v_dual_mov_b32 v37, 0
	v_mov_b32_e32 v38, 0x3ff00000
	s_mov_b32 s52, exec_lo
	v_cmpx_neq_f64_e32 0, v[31:32]
	s_cbranch_execz .LBB21_213
; %bb.212:                              ;   in Loop: Header=BB21_146 Depth=3
	v_div_scale_f64 v[33:34], null, v[31:32], v[31:32], -v[35:36]
	v_div_scale_f64 v[41:42], vcc_lo, -v[35:36], v[31:32], -v[35:36]
	s_delay_alu instid0(VALU_DEP_2) | instskip(SKIP_2) | instid1(VALU_DEP_1)
	v_rcp_f64_e32 v[37:38], v[33:34]
	s_waitcnt_depctr 0xfff
	v_fma_f64 v[39:40], -v[33:34], v[37:38], 1.0
	v_fma_f64 v[37:38], v[37:38], v[39:40], v[37:38]
	s_delay_alu instid0(VALU_DEP_1) | instskip(NEXT) | instid1(VALU_DEP_1)
	v_fma_f64 v[39:40], -v[33:34], v[37:38], 1.0
	v_fma_f64 v[37:38], v[37:38], v[39:40], v[37:38]
	s_delay_alu instid0(VALU_DEP_1) | instskip(NEXT) | instid1(VALU_DEP_1)
	v_mul_f64 v[39:40], v[41:42], v[37:38]
	v_fma_f64 v[33:34], -v[33:34], v[39:40], v[41:42]
	s_delay_alu instid0(VALU_DEP_1) | instskip(NEXT) | instid1(VALU_DEP_1)
	v_div_fmas_f64 v[33:34], v[33:34], v[37:38], v[39:40]
	v_div_fixup_f64 v[31:32], v[33:34], v[31:32], -v[35:36]
	s_delay_alu instid0(VALU_DEP_1) | instskip(NEXT) | instid1(VALU_DEP_1)
	v_fma_f64 v[33:34], v[31:32], v[31:32], 1.0
	v_cmp_gt_f64_e32 vcc_lo, 0x10000000, v[33:34]
	v_cndmask_b32_e64 v35, 0, 1, vcc_lo
	s_delay_alu instid0(VALU_DEP_1) | instskip(NEXT) | instid1(VALU_DEP_1)
	v_lshlrev_b32_e32 v35, 8, v35
	v_ldexp_f64 v[33:34], v[33:34], v35
	s_delay_alu instid0(VALU_DEP_1) | instskip(SKIP_3) | instid1(VALU_DEP_1)
	v_rsq_f64_e32 v[35:36], v[33:34]
	s_waitcnt_depctr 0xfff
	v_mul_f64 v[37:38], v[33:34], v[35:36]
	v_mul_f64 v[35:36], v[35:36], 0.5
	v_fma_f64 v[39:40], -v[35:36], v[37:38], 0.5
	s_delay_alu instid0(VALU_DEP_1) | instskip(SKIP_1) | instid1(VALU_DEP_2)
	v_fma_f64 v[37:38], v[37:38], v[39:40], v[37:38]
	v_fma_f64 v[35:36], v[35:36], v[39:40], v[35:36]
	v_fma_f64 v[39:40], -v[37:38], v[37:38], v[33:34]
	s_delay_alu instid0(VALU_DEP_1) | instskip(NEXT) | instid1(VALU_DEP_1)
	v_fma_f64 v[37:38], v[39:40], v[35:36], v[37:38]
	v_fma_f64 v[39:40], -v[37:38], v[37:38], v[33:34]
	s_delay_alu instid0(VALU_DEP_1) | instskip(SKIP_2) | instid1(VALU_DEP_2)
	v_fma_f64 v[35:36], v[39:40], v[35:36], v[37:38]
	v_cndmask_b32_e64 v37, 0, 0xffffff80, vcc_lo
	v_cmp_class_f64_e64 vcc_lo, v[33:34], 0x260
	v_ldexp_f64 v[35:36], v[35:36], v37
	s_delay_alu instid0(VALU_DEP_1) | instskip(NEXT) | instid1(VALU_DEP_1)
	v_dual_cndmask_b32 v34, v36, v34 :: v_dual_cndmask_b32 v33, v35, v33
	v_div_scale_f64 v[35:36], null, v[33:34], v[33:34], 1.0
	s_delay_alu instid0(VALU_DEP_1) | instskip(SKIP_2) | instid1(VALU_DEP_1)
	v_rcp_f64_e32 v[37:38], v[35:36]
	s_waitcnt_depctr 0xfff
	v_fma_f64 v[39:40], -v[35:36], v[37:38], 1.0
	v_fma_f64 v[37:38], v[37:38], v[39:40], v[37:38]
	s_delay_alu instid0(VALU_DEP_1) | instskip(NEXT) | instid1(VALU_DEP_1)
	v_fma_f64 v[39:40], -v[35:36], v[37:38], 1.0
	v_fma_f64 v[37:38], v[37:38], v[39:40], v[37:38]
	v_div_scale_f64 v[39:40], vcc_lo, 1.0, v[33:34], 1.0
	s_delay_alu instid0(VALU_DEP_1) | instskip(NEXT) | instid1(VALU_DEP_1)
	v_mul_f64 v[41:42], v[39:40], v[37:38]
	v_fma_f64 v[35:36], -v[35:36], v[41:42], v[39:40]
	s_delay_alu instid0(VALU_DEP_1) | instskip(NEXT) | instid1(VALU_DEP_1)
	v_div_fmas_f64 v[35:36], v[35:36], v[37:38], v[41:42]
	v_div_fixup_f64 v[37:38], v[35:36], v[33:34], 1.0
	s_delay_alu instid0(VALU_DEP_1)
	v_mul_f64 v[33:34], v[31:32], v[37:38]
.LBB21_213:                             ;   in Loop: Header=BB21_146 Depth=3
	s_or_b32 exec_lo, exec_lo, s52
                                        ; implicit-def: $vgpr35_vgpr36
                                        ; implicit-def: $vgpr31_vgpr32
.LBB21_214:                             ;   in Loop: Header=BB21_146 Depth=3
	s_and_not1_saveexec_b32 s2, s2
	s_cbranch_execz .LBB21_216
; %bb.215:                              ;   in Loop: Header=BB21_146 Depth=3
	v_div_scale_f64 v[33:34], null, v[35:36], v[35:36], -v[31:32]
	v_div_scale_f64 v[41:42], vcc_lo, -v[31:32], v[35:36], -v[31:32]
	s_delay_alu instid0(VALU_DEP_2) | instskip(SKIP_2) | instid1(VALU_DEP_1)
	v_rcp_f64_e32 v[37:38], v[33:34]
	s_waitcnt_depctr 0xfff
	v_fma_f64 v[39:40], -v[33:34], v[37:38], 1.0
	v_fma_f64 v[37:38], v[37:38], v[39:40], v[37:38]
	s_delay_alu instid0(VALU_DEP_1) | instskip(NEXT) | instid1(VALU_DEP_1)
	v_fma_f64 v[39:40], -v[33:34], v[37:38], 1.0
	v_fma_f64 v[37:38], v[37:38], v[39:40], v[37:38]
	s_delay_alu instid0(VALU_DEP_1) | instskip(NEXT) | instid1(VALU_DEP_1)
	v_mul_f64 v[39:40], v[41:42], v[37:38]
	v_fma_f64 v[33:34], -v[33:34], v[39:40], v[41:42]
	s_delay_alu instid0(VALU_DEP_1) | instskip(NEXT) | instid1(VALU_DEP_1)
	v_div_fmas_f64 v[33:34], v[33:34], v[37:38], v[39:40]
	v_div_fixup_f64 v[31:32], v[33:34], v[35:36], -v[31:32]
	s_delay_alu instid0(VALU_DEP_1) | instskip(NEXT) | instid1(VALU_DEP_1)
	v_fma_f64 v[33:34], v[31:32], v[31:32], 1.0
	v_cmp_gt_f64_e32 vcc_lo, 0x10000000, v[33:34]
	v_cndmask_b32_e64 v35, 0, 1, vcc_lo
	s_delay_alu instid0(VALU_DEP_1) | instskip(NEXT) | instid1(VALU_DEP_1)
	v_lshlrev_b32_e32 v35, 8, v35
	v_ldexp_f64 v[33:34], v[33:34], v35
	s_delay_alu instid0(VALU_DEP_1) | instskip(SKIP_3) | instid1(VALU_DEP_1)
	v_rsq_f64_e32 v[35:36], v[33:34]
	s_waitcnt_depctr 0xfff
	v_mul_f64 v[37:38], v[33:34], v[35:36]
	v_mul_f64 v[35:36], v[35:36], 0.5
	v_fma_f64 v[39:40], -v[35:36], v[37:38], 0.5
	s_delay_alu instid0(VALU_DEP_1) | instskip(SKIP_1) | instid1(VALU_DEP_2)
	v_fma_f64 v[37:38], v[37:38], v[39:40], v[37:38]
	v_fma_f64 v[35:36], v[35:36], v[39:40], v[35:36]
	v_fma_f64 v[39:40], -v[37:38], v[37:38], v[33:34]
	s_delay_alu instid0(VALU_DEP_1) | instskip(NEXT) | instid1(VALU_DEP_1)
	v_fma_f64 v[37:38], v[39:40], v[35:36], v[37:38]
	v_fma_f64 v[39:40], -v[37:38], v[37:38], v[33:34]
	s_delay_alu instid0(VALU_DEP_1) | instskip(SKIP_2) | instid1(VALU_DEP_2)
	v_fma_f64 v[35:36], v[39:40], v[35:36], v[37:38]
	v_cndmask_b32_e64 v37, 0, 0xffffff80, vcc_lo
	v_cmp_class_f64_e64 vcc_lo, v[33:34], 0x260
	v_ldexp_f64 v[35:36], v[35:36], v37
	s_delay_alu instid0(VALU_DEP_1) | instskip(NEXT) | instid1(VALU_DEP_1)
	v_dual_cndmask_b32 v34, v36, v34 :: v_dual_cndmask_b32 v33, v35, v33
	v_div_scale_f64 v[35:36], null, v[33:34], v[33:34], 1.0
	s_delay_alu instid0(VALU_DEP_1) | instskip(SKIP_2) | instid1(VALU_DEP_1)
	v_rcp_f64_e32 v[37:38], v[35:36]
	s_waitcnt_depctr 0xfff
	v_fma_f64 v[39:40], -v[35:36], v[37:38], 1.0
	v_fma_f64 v[37:38], v[37:38], v[39:40], v[37:38]
	s_delay_alu instid0(VALU_DEP_1) | instskip(NEXT) | instid1(VALU_DEP_1)
	v_fma_f64 v[39:40], -v[35:36], v[37:38], 1.0
	v_fma_f64 v[37:38], v[37:38], v[39:40], v[37:38]
	v_div_scale_f64 v[39:40], vcc_lo, 1.0, v[33:34], 1.0
	s_delay_alu instid0(VALU_DEP_1) | instskip(NEXT) | instid1(VALU_DEP_1)
	v_mul_f64 v[41:42], v[39:40], v[37:38]
	v_fma_f64 v[35:36], -v[35:36], v[41:42], v[39:40]
	s_delay_alu instid0(VALU_DEP_1) | instskip(NEXT) | instid1(VALU_DEP_1)
	v_div_fmas_f64 v[35:36], v[35:36], v[37:38], v[41:42]
	v_div_fixup_f64 v[33:34], v[35:36], v[33:34], 1.0
	s_delay_alu instid0(VALU_DEP_1)
	v_mul_f64 v[37:38], v[31:32], v[33:34]
.LBB21_216:                             ;   in Loop: Header=BB21_146 Depth=3
	s_or_b32 exec_lo, exec_lo, s2
	s_delay_alu instid0(VALU_DEP_1) | instskip(SKIP_2) | instid1(VALU_DEP_1)
	v_xor_b32_e32 v31, 0x80000000, v34
	v_cmp_eq_u32_e32 vcc_lo, v7, v26
	v_add_co_u32 v29, s2, s40, v29
	v_add_co_ci_u32_e64 v30, s2, s41, v30, s2
	s_delay_alu instid0(VALU_DEP_4) | instskip(SKIP_1) | instid1(VALU_DEP_4)
	v_dual_cndmask_b32 v32, v38, v31 :: v_dual_cndmask_b32 v31, v37, v33
	v_dual_cndmask_b32 v34, v34, v38 :: v_dual_cndmask_b32 v33, v33, v37
	v_add_co_u32 v35, vcc_lo, v29, s44
	s_delay_alu instid0(VALU_DEP_4)
	v_add_co_ci_u32_e32 v36, vcc_lo, s45, v30, vcc_lo
	v_add_nc_u32_e32 v23, -2, v23
	v_add_co_u32 v26, vcc_lo, s90, v27
	v_add_co_ci_u32_e32 v27, vcc_lo, s91, v28, vcc_lo
	v_mov_b32_e32 v7, v8
	s_clause 0x1
	global_store_b64 v[29:30], v[31:32], off
	global_store_b64 v[35:36], v[33:34], off offset:-8
	global_store_b128 v[24:25], v[1:4], off offset:-8
	global_store_b64 v[26:27], v[7:8], off
	ds_store_b32 v8, v23 offset:16
	s_or_b32 exec_lo, exec_lo, s3
                                        ; implicit-def: $vgpr2
.LBB21_217:                             ;   in Loop: Header=BB21_146 Depth=3
	s_and_not1_saveexec_b32 s2, s21
	s_cbranch_execz .LBB21_219
.LBB21_218:                             ;   in Loop: Header=BB21_146 Depth=3
	ds_store_b32 v8, v2 offset:16
.LBB21_219:                             ;   in Loop: Header=BB21_146 Depth=3
	s_or_b32 exec_lo, exec_lo, s2
.LBB21_220:                             ;   in Loop: Header=BB21_146 Depth=3
	s_delay_alu instid0(SALU_CYCLE_1)
	s_or_b32 exec_lo, exec_lo, s10
	s_waitcnt lgkmcnt(0)
	s_waitcnt_vscnt null, 0x0
	s_barrier
	buffer_gl0_inv
	ds_load_b64 v[1:2], v8 offset:16
	s_waitcnt lgkmcnt(0)
	v_readfirstlane_b32 s2, v2
	s_delay_alu instid0(VALU_DEP_1)
	v_cmp_eq_u32_e32 vcc_lo, s2, v1
	v_mov_b32_e32 v23, s2
	s_cbranch_vccnz .LBB21_145
; %bb.221:                              ;   in Loop: Header=BB21_146 Depth=3
	s_and_saveexec_b32 s10, s1
	s_cbranch_execz .LBB21_144
; %bb.222:                              ;   in Loop: Header=BB21_146 Depth=3
	ds_load_b32 v1, v8 offset:28
	s_ashr_i32 s3, s2, 31
	s_mul_i32 s54, s2, s27
	s_lshl_b64 s[52:53], s[2:3], 3
	v_mov_b32_e32 v7, v0
	s_waitcnt lgkmcnt(0)
	v_readfirstlane_b32 s21, v1
	s_delay_alu instid0(VALU_DEP_1)
	s_sub_i32 s21, s21, s2
	s_add_u32 s52, s40, s52
	s_addc_u32 s53, s41, s53
	s_ashr_i32 s55, s54, 31
	s_mul_hi_i32 s3, s21, s16
	s_lshl_b64 s[56:57], s[54:55], 3
	s_mul_i32 s2, s21, s16
	s_add_u32 s54, s88, s56
	s_addc_u32 s55, s89, s57
	s_cmp_gt_i32 s21, 0
	v_add_co_u32 v1, vcc_lo, v59, s56
	v_add_co_ci_u32_e32 v2, vcc_lo, s57, v60, vcc_lo
	s_cselect_b32 s56, -1, 0
	s_lshl_b64 s[2:3], s[2:3], 3
	s_mov_b32 s57, 0
	s_add_u32 s58, s54, s2
	s_addc_u32 s59, s55, s3
	s_branch .LBB21_224
.LBB21_223:                             ;   in Loop: Header=BB21_224 Depth=4
	v_add_nc_u32_e32 v7, s13, v7
	v_add_co_u32 v23, vcc_lo, s58, v23
	v_add_co_ci_u32_e32 v24, vcc_lo, s59, v24, vcc_lo
	s_delay_alu instid0(VALU_DEP_3) | instskip(SKIP_1) | instid1(VALU_DEP_1)
	v_cmp_le_i32_e32 vcc_lo, s24, v7
	v_add_co_u32 v1, s2, v1, s75
	v_add_co_ci_u32_e64 v2, s2, 0, v2, s2
	s_or_b32 s57, vcc_lo, s57
	s_waitcnt vmcnt(0) lgkmcnt(0)
	flat_store_b64 v[23:24], v[3:4]
	s_and_not1_b32 exec_lo, exec_lo, s57
	s_cbranch_execz .LBB21_144
.LBB21_224:                             ;   Parent Loop BB21_7 Depth=1
                                        ;     Parent Loop BB21_40 Depth=2
                                        ;       Parent Loop BB21_146 Depth=3
                                        ; =>      This Loop Header: Depth=4
                                        ;           Child Loop BB21_225 Depth 5
	v_lshlrev_b64 v[23:24], 3, v[7:8]
	v_dual_mov_b32 v26, v2 :: v_dual_mov_b32 v25, v1
	s_mov_b64 s[2:3], s[52:53]
	s_mov_b32 s60, s21
	s_delay_alu instid0(VALU_DEP_2) | instskip(NEXT) | instid1(VALU_DEP_3)
	v_add_co_u32 v3, vcc_lo, s54, v23
	v_add_co_ci_u32_e32 v4, vcc_lo, s55, v24, vcc_lo
	s_and_not1_b32 vcc_lo, exec_lo, s56
	flat_load_b64 v[3:4], v[3:4]
	s_cbranch_vccnz .LBB21_223
	.p2align	6
.LBB21_225:                             ;   Parent Loop BB21_7 Depth=1
                                        ;     Parent Loop BB21_40 Depth=2
                                        ;       Parent Loop BB21_146 Depth=3
                                        ;         Parent Loop BB21_224 Depth=4
                                        ; =>        This Inner Loop Header: Depth=5
	s_delay_alu instid0(VALU_DEP_1) | instskip(NEXT) | instid1(VALU_DEP_2)
	v_add_co_u32 v27, vcc_lo, v25, s8
	v_add_co_ci_u32_e32 v28, vcc_lo, s9, v26, vcc_lo
	s_add_u32 vcc_lo, s2, s25
	s_addc_u32 vcc_hi, s3, s98
	global_load_b64 v[29:30], v8, vcc
	flat_load_b64 v[31:32], v[27:28]
	global_load_b64 v[33:34], v8, s[2:3]
	s_add_i32 s60, s60, -1
	s_add_u32 s2, s2, 8
	s_addc_u32 s3, s3, 0
	s_cmp_eq_u32 s60, 0
	s_waitcnt vmcnt(1) lgkmcnt(0)
	v_mul_f64 v[35:36], v[29:30], v[31:32]
	v_mul_f64 v[29:30], v[3:4], v[29:30]
	s_waitcnt vmcnt(0)
	s_delay_alu instid0(VALU_DEP_2) | instskip(NEXT) | instid1(VALU_DEP_2)
	v_fma_f64 v[35:36], v[3:4], v[33:34], v[35:36]
	v_fma_f64 v[3:4], v[33:34], v[31:32], -v[29:30]
	flat_store_b64 v[25:26], v[35:36]
	v_dual_mov_b32 v25, v27 :: v_dual_mov_b32 v26, v28
	s_cbranch_scc0 .LBB21_225
	s_branch .LBB21_223
.LBB21_226:                             ;   in Loop: Header=BB21_146 Depth=3
	s_or_b32 exec_lo, exec_lo, s3
                                        ; implicit-def: $vgpr2
	s_and_not1_saveexec_b32 s2, s21
	s_cbranch_execnz .LBB21_218
	s_branch .LBB21_219
.LBB21_227:                             ;   in Loop: Header=BB21_40 Depth=2
	v_mov_b32_e32 v28, v20
	v_dual_mov_b32 v30, v22 :: v_dual_mov_b32 v29, v21
	v_dual_mov_b32 v24, v61 :: v_dual_mov_b32 v27, v19
.LBB21_228:                             ;   in Loop: Header=BB21_40 Depth=2
	s_barrier
	buffer_gl0_inv
	ds_load_b64 v[1:2], v8 offset:8
	s_waitcnt lgkmcnt(0)
	v_cmp_nlt_f64_e32 vcc_lo, s[34:35], v[1:2]
	s_cbranch_vccnz .LBB21_235
; %bb.229:                              ;   in Loop: Header=BB21_40 Depth=2
	v_div_scale_f64 v[3:4], null, v[1:2], v[1:2], s[34:35]
	s_delay_alu instid0(VALU_DEP_1) | instskip(SKIP_2) | instid1(VALU_DEP_1)
	v_rcp_f64_e32 v[19:20], v[3:4]
	s_waitcnt_depctr 0xfff
	v_fma_f64 v[21:22], -v[3:4], v[19:20], 1.0
	v_fma_f64 v[19:20], v[19:20], v[21:22], v[19:20]
	s_delay_alu instid0(VALU_DEP_1) | instskip(NEXT) | instid1(VALU_DEP_1)
	v_fma_f64 v[21:22], -v[3:4], v[19:20], 1.0
	v_fma_f64 v[19:20], v[19:20], v[21:22], v[19:20]
	v_div_scale_f64 v[21:22], vcc_lo, s[34:35], v[1:2], s[34:35]
	s_delay_alu instid0(VALU_DEP_1) | instskip(NEXT) | instid1(VALU_DEP_1)
	v_mul_f64 v[25:26], v[21:22], v[19:20]
	v_fma_f64 v[3:4], -v[3:4], v[25:26], v[21:22]
	s_delay_alu instid0(VALU_DEP_1)
	v_div_fmas_f64 v[3:4], v[3:4], v[19:20], v[25:26]
	ds_load_2addr_b32 v[19:20], v8 offset0:7 offset1:10
	v_div_fixup_f64 v[3:4], v[3:4], v[1:2], s[34:35]
	s_and_saveexec_b32 s2, s0
	s_cbranch_execz .LBB21_231
; %bb.230:                              ;   in Loop: Header=BB21_40 Depth=2
	s_waitcnt lgkmcnt(0)
	v_ashrrev_i32_e32 v22, 31, v20
	v_mov_b32_e32 v21, v20
	s_delay_alu instid0(VALU_DEP_1) | instskip(NEXT) | instid1(VALU_DEP_1)
	v_lshlrev_b64 v[21:22], 3, v[21:22]
	v_add_co_u32 v21, vcc_lo, s38, v21
	s_delay_alu instid0(VALU_DEP_2)
	v_add_co_ci_u32_e32 v22, vcc_lo, s39, v22, vcc_lo
	global_load_b64 v[25:26], v[21:22], off
	s_waitcnt vmcnt(0)
	v_mul_f64 v[25:26], v[3:4], v[25:26]
	global_store_b64 v[21:22], v[25:26], off
.LBB21_231:                             ;   in Loop: Header=BB21_40 Depth=2
	s_or_b32 exec_lo, exec_lo, s2
	s_waitcnt lgkmcnt(0)
	v_add_nc_u32_e32 v21, v19, v0
	s_mov_b32 s3, exec_lo
	s_delay_alu instid0(VALU_DEP_1)
	v_cmpx_lt_i32_e64 v21, v20
	s_cbranch_execz .LBB21_234
; %bb.232:                              ;   in Loop: Header=BB21_40 Depth=2
	v_ashrrev_i32_e32 v22, 31, v21
	s_mov_b32 s10, 0
	s_delay_alu instid0(VALU_DEP_1) | instskip(NEXT) | instid1(VALU_DEP_1)
	v_lshlrev_b64 v[22:23], 3, v[21:22]
	v_add_co_u32 v7, vcc_lo, s36, v22
	s_delay_alu instid0(VALU_DEP_2)
	v_add_co_ci_u32_e32 v19, vcc_lo, s37, v23, vcc_lo
	.p2align	6
.LBB21_233:                             ;   Parent Loop BB21_7 Depth=1
                                        ;     Parent Loop BB21_40 Depth=2
                                        ; =>    This Inner Loop Header: Depth=3
	s_delay_alu instid0(VALU_DEP_2) | instskip(NEXT) | instid1(VALU_DEP_2)
	v_add_co_u32 v22, vcc_lo, s63, v7
	v_add_co_ci_u32_e32 v23, vcc_lo, s64, v19, vcc_lo
	v_add_co_u32 v31, vcc_lo, s65, v7
	v_add_co_ci_u32_e32 v32, vcc_lo, s66, v19, vcc_lo
	global_load_b64 v[25:26], v[22:23], off
	v_add_nc_u32_e32 v21, s13, v21
	v_add_co_u32 v7, s2, v7, s75
	s_delay_alu instid0(VALU_DEP_1) | instskip(NEXT) | instid1(VALU_DEP_3)
	v_add_co_ci_u32_e64 v19, s2, 0, v19, s2
	v_cmp_ge_i32_e32 vcc_lo, v21, v20
	s_or_b32 s10, vcc_lo, s10
	s_waitcnt vmcnt(0)
	v_mul_f64 v[25:26], v[3:4], v[25:26]
	global_store_b64 v[22:23], v[25:26], off
	global_load_b64 v[22:23], v[31:32], off
	s_waitcnt vmcnt(0)
	v_mul_f64 v[22:23], v[3:4], v[22:23]
	global_store_b64 v[31:32], v[22:23], off
	s_and_not1_b32 exec_lo, exec_lo, s10
	s_cbranch_execnz .LBB21_233
.LBB21_234:                             ;   in Loop: Header=BB21_40 Depth=2
	s_or_b32 exec_lo, exec_lo, s3
.LBB21_235:                             ;   in Loop: Header=BB21_40 Depth=2
	v_cmp_ngt_f64_e32 vcc_lo, s[30:31], v[1:2]
	s_cbranch_vccnz .LBB21_242
; %bb.236:                              ;   in Loop: Header=BB21_40 Depth=2
	v_div_scale_f64 v[3:4], null, v[1:2], v[1:2], s[30:31]
	s_delay_alu instid0(VALU_DEP_1) | instskip(SKIP_2) | instid1(VALU_DEP_1)
	v_rcp_f64_e32 v[19:20], v[3:4]
	s_waitcnt_depctr 0xfff
	v_fma_f64 v[21:22], -v[3:4], v[19:20], 1.0
	v_fma_f64 v[19:20], v[19:20], v[21:22], v[19:20]
	s_delay_alu instid0(VALU_DEP_1) | instskip(NEXT) | instid1(VALU_DEP_1)
	v_fma_f64 v[21:22], -v[3:4], v[19:20], 1.0
	v_fma_f64 v[19:20], v[19:20], v[21:22], v[19:20]
	v_div_scale_f64 v[21:22], vcc_lo, s[30:31], v[1:2], s[30:31]
	s_delay_alu instid0(VALU_DEP_1) | instskip(NEXT) | instid1(VALU_DEP_1)
	v_mul_f64 v[25:26], v[21:22], v[19:20]
	v_fma_f64 v[3:4], -v[3:4], v[25:26], v[21:22]
	s_delay_alu instid0(VALU_DEP_1) | instskip(NEXT) | instid1(VALU_DEP_1)
	v_div_fmas_f64 v[3:4], v[3:4], v[19:20], v[25:26]
	v_div_fixup_f64 v[1:2], v[3:4], v[1:2], s[30:31]
	ds_load_2addr_b32 v[3:4], v8 offset0:7 offset1:10
	s_and_saveexec_b32 s2, s0
	s_cbranch_execz .LBB21_238
; %bb.237:                              ;   in Loop: Header=BB21_40 Depth=2
	s_waitcnt lgkmcnt(0)
	v_ashrrev_i32_e32 v20, 31, v4
	v_mov_b32_e32 v19, v4
	s_delay_alu instid0(VALU_DEP_1) | instskip(NEXT) | instid1(VALU_DEP_1)
	v_lshlrev_b64 v[19:20], 3, v[19:20]
	v_add_co_u32 v19, vcc_lo, s38, v19
	s_delay_alu instid0(VALU_DEP_2)
	v_add_co_ci_u32_e32 v20, vcc_lo, s39, v20, vcc_lo
	global_load_b64 v[21:22], v[19:20], off
	s_waitcnt vmcnt(0)
	v_mul_f64 v[21:22], v[1:2], v[21:22]
	global_store_b64 v[19:20], v[21:22], off
.LBB21_238:                             ;   in Loop: Header=BB21_40 Depth=2
	s_or_b32 exec_lo, exec_lo, s2
	s_waitcnt lgkmcnt(0)
	v_add_nc_u32_e32 v19, v3, v0
	s_mov_b32 s3, exec_lo
	s_delay_alu instid0(VALU_DEP_1)
	v_cmpx_lt_i32_e64 v19, v4
	s_cbranch_execz .LBB21_241
; %bb.239:                              ;   in Loop: Header=BB21_40 Depth=2
	v_ashrrev_i32_e32 v20, 31, v19
	s_mov_b32 s10, 0
	s_delay_alu instid0(VALU_DEP_1) | instskip(NEXT) | instid1(VALU_DEP_1)
	v_lshlrev_b64 v[20:21], 3, v[19:20]
	v_add_co_u32 v3, vcc_lo, s36, v20
	s_delay_alu instid0(VALU_DEP_2)
	v_add_co_ci_u32_e32 v7, vcc_lo, s37, v21, vcc_lo
	.p2align	6
.LBB21_240:                             ;   Parent Loop BB21_7 Depth=1
                                        ;     Parent Loop BB21_40 Depth=2
                                        ; =>    This Inner Loop Header: Depth=3
	s_delay_alu instid0(VALU_DEP_2) | instskip(NEXT) | instid1(VALU_DEP_2)
	v_add_co_u32 v20, vcc_lo, s63, v3
	v_add_co_ci_u32_e32 v21, vcc_lo, s64, v7, vcc_lo
	v_add_co_u32 v25, vcc_lo, s65, v3
	v_add_co_ci_u32_e32 v26, vcc_lo, s66, v7, vcc_lo
	global_load_b64 v[22:23], v[20:21], off
	v_add_nc_u32_e32 v19, s13, v19
	v_add_co_u32 v3, s2, v3, s75
	s_delay_alu instid0(VALU_DEP_1) | instskip(NEXT) | instid1(VALU_DEP_3)
	v_add_co_ci_u32_e64 v7, s2, 0, v7, s2
	v_cmp_ge_i32_e32 vcc_lo, v19, v4
	s_or_b32 s10, vcc_lo, s10
	s_waitcnt vmcnt(0)
	v_mul_f64 v[22:23], v[1:2], v[22:23]
	global_store_b64 v[20:21], v[22:23], off
	global_load_b64 v[20:21], v[25:26], off
	s_waitcnt vmcnt(0)
	v_mul_f64 v[20:21], v[1:2], v[20:21]
	global_store_b64 v[25:26], v[20:21], off
	s_and_not1_b32 exec_lo, exec_lo, s10
	s_cbranch_execnz .LBB21_240
.LBB21_241:                             ;   in Loop: Header=BB21_40 Depth=2
	s_or_b32 exec_lo, exec_lo, s3
.LBB21_242:                             ;   in Loop: Header=BB21_40 Depth=2
	s_waitcnt_vscnt null, 0x0
	s_barrier
	buffer_gl0_inv
.LBB21_243:                             ;   in Loop: Header=BB21_40 Depth=2
	ds_load_2addr_b32 v[1:2], v8 offset0:6 offset1:9
	s_waitcnt lgkmcnt(0)
	v_cmp_gt_i32_e32 vcc_lo, s24, v1
	v_cmp_gt_i32_e64 s2, s15, v2
	v_readfirstlane_b32 s52, v1
	s_delay_alu instid0(VALU_DEP_2) | instskip(NEXT) | instid1(SALU_CYCLE_1)
	s_and_b32 s2, vcc_lo, s2
	s_and_not1_b32 vcc_lo, exec_lo, s2
	s_cbranch_vccnz .LBB21_246
; %bb.244:                              ;   in Loop: Header=BB21_40 Depth=2
	v_mov_b32_e32 v21, v29
	v_dual_mov_b32 v61, v24 :: v_dual_mov_b32 v22, v30
	v_dual_mov_b32 v19, v27 :: v_dual_mov_b32 v20, v28
	s_and_saveexec_b32 s10, s0
	s_cbranch_execnz .LBB21_17
	s_branch .LBB21_40
.LBB21_245:                             ;   in Loop: Header=BB21_7 Depth=1
	v_dual_mov_b32 v30, v22 :: v_dual_mov_b32 v29, v21
	v_dual_mov_b32 v28, v20 :: v_dual_mov_b32 v27, v19
	v_mov_b32_e32 v24, v61
.LBB21_246:                             ;   in Loop: Header=BB21_7 Depth=1
	s_mov_b32 s2, exec_lo
	v_cmpx_gt_i32_e64 s20, v0
	s_cbranch_execz .LBB21_5
; %bb.247:                              ;   in Loop: Header=BB21_7 Depth=1
	s_lshl_b64 s[22:23], s[22:23], 3
	v_mov_b32_e32 v3, v0
	v_add_co_u32 v1, vcc_lo, v56, s22
	v_add_co_ci_u32_e32 v2, vcc_lo, s23, v57, vcc_lo
	s_mov_b32 s3, 0
	s_set_inst_prefetch_distance 0x1
	s_branch .LBB21_249
	.p2align	6
.LBB21_248:                             ;   in Loop: Header=BB21_249 Depth=2
	s_or_b32 exec_lo, exec_lo, s1
	v_add_nc_u32_e32 v3, s13, v3
	v_add_co_u32 v1, s1, v1, s75
	s_delay_alu instid0(VALU_DEP_1) | instskip(NEXT) | instid1(VALU_DEP_3)
	v_add_co_ci_u32_e64 v2, s1, 0, v2, s1
	v_cmp_le_i32_e32 vcc_lo, s20, v3
	s_or_b32 s3, vcc_lo, s3
	s_delay_alu instid0(SALU_CYCLE_1)
	s_and_not1_b32 exec_lo, exec_lo, s3
	s_cbranch_execz .LBB21_5
.LBB21_249:                             ;   Parent Loop BB21_7 Depth=1
                                        ; =>  This Inner Loop Header: Depth=2
	global_load_b64 v[19:20], v[1:2], off
	s_mov_b32 s1, exec_lo
	s_waitcnt vmcnt(0)
	v_cmpx_neq_f64_e32 0, v[19:20]
	s_cbranch_execz .LBB21_248
; %bb.250:                              ;   in Loop: Header=BB21_249 Depth=2
	s_mov_b32 s10, exec_lo
	s_delay_alu instid0(SALU_CYCLE_1) | instskip(NEXT) | instid1(VALU_DEP_1)
	v_mbcnt_lo_u32_b32 v4, s10, 0
	v_cmp_eq_u32_e32 vcc_lo, 0, v4
	s_and_b32 s15, exec_lo, vcc_lo
	s_delay_alu instid0(SALU_CYCLE_1)
	s_mov_b32 exec_lo, s15
	s_cbranch_execz .LBB21_248
; %bb.251:                              ;   in Loop: Header=BB21_249 Depth=2
	s_bcnt1_i32_b32 s10, s10
	s_delay_alu instid0(SALU_CYCLE_1)
	v_mov_b32_e32 v4, s10
	global_atomic_add_u32 v8, v4, s[6:7]
	s_branch .LBB21_248
.LBB21_252:
	s_endpgm
.LBB21_253:
                                        ; implicit-def: $sgpr4_sgpr5
	s_branch .LBB21_2
	.section	.rodata,"a",@progbits
	.p2align	6, 0x0
	.amdhsa_kernel _ZN9rocsolver6v33100L19stedcx_solve_kernelIdEEviPT_lS3_lS3_iilPiS3_S4_S2_S2_S2_
		.amdhsa_group_segment_fixed_size 48
		.amdhsa_private_segment_fixed_size 0
		.amdhsa_kernarg_size 368
		.amdhsa_user_sgpr_count 13
		.amdhsa_user_sgpr_dispatch_ptr 0
		.amdhsa_user_sgpr_queue_ptr 0
		.amdhsa_user_sgpr_kernarg_segment_ptr 1
		.amdhsa_user_sgpr_dispatch_id 0
		.amdhsa_user_sgpr_private_segment_size 0
		.amdhsa_wavefront_size32 1
		.amdhsa_uses_dynamic_stack 0
		.amdhsa_enable_private_segment 0
		.amdhsa_system_sgpr_workgroup_id_x 1
		.amdhsa_system_sgpr_workgroup_id_y 1
		.amdhsa_system_sgpr_workgroup_id_z 1
		.amdhsa_system_sgpr_workgroup_info 0
		.amdhsa_system_vgpr_workitem_id 0
		.amdhsa_next_free_vgpr 73
		.amdhsa_next_free_sgpr 105
		.amdhsa_reserve_vcc 1
		.amdhsa_float_round_mode_32 0
		.amdhsa_float_round_mode_16_64 0
		.amdhsa_float_denorm_mode_32 3
		.amdhsa_float_denorm_mode_16_64 3
		.amdhsa_dx10_clamp 1
		.amdhsa_ieee_mode 1
		.amdhsa_fp16_overflow 0
		.amdhsa_workgroup_processor_mode 1
		.amdhsa_memory_ordered 1
		.amdhsa_forward_progress 0
		.amdhsa_shared_vgpr_count 0
		.amdhsa_exception_fp_ieee_invalid_op 0
		.amdhsa_exception_fp_denorm_src 0
		.amdhsa_exception_fp_ieee_div_zero 0
		.amdhsa_exception_fp_ieee_overflow 0
		.amdhsa_exception_fp_ieee_underflow 0
		.amdhsa_exception_fp_ieee_inexact 0
		.amdhsa_exception_int_div_zero 0
	.end_amdhsa_kernel
	.section	.text._ZN9rocsolver6v33100L19stedcx_solve_kernelIdEEviPT_lS3_lS3_iilPiS3_S4_S2_S2_S2_,"axG",@progbits,_ZN9rocsolver6v33100L19stedcx_solve_kernelIdEEviPT_lS3_lS3_iilPiS3_S4_S2_S2_S2_,comdat
.Lfunc_end21:
	.size	_ZN9rocsolver6v33100L19stedcx_solve_kernelIdEEviPT_lS3_lS3_iilPiS3_S4_S2_S2_S2_, .Lfunc_end21-_ZN9rocsolver6v33100L19stedcx_solve_kernelIdEEviPT_lS3_lS3_iilPiS3_S4_S2_S2_S2_
                                        ; -- End function
	.section	.AMDGPU.csdata,"",@progbits
; Kernel info:
; codeLenInByte = 17620
; NumSgprs: 107
; NumVgprs: 73
; ScratchSize: 0
; MemoryBound: 0
; FloatMode: 240
; IeeeMode: 1
; LDSByteSize: 48 bytes/workgroup (compile time only)
; SGPRBlocks: 13
; VGPRBlocks: 9
; NumSGPRsForWavesPerEU: 107
; NumVGPRsForWavesPerEU: 73
; Occupancy: 16
; WaveLimiterHint : 1
; COMPUTE_PGM_RSRC2:SCRATCH_EN: 0
; COMPUTE_PGM_RSRC2:USER_SGPR: 13
; COMPUTE_PGM_RSRC2:TRAP_HANDLER: 0
; COMPUTE_PGM_RSRC2:TGID_X_EN: 1
; COMPUTE_PGM_RSRC2:TGID_Y_EN: 1
; COMPUTE_PGM_RSRC2:TGID_Z_EN: 1
; COMPUTE_PGM_RSRC2:TIDIG_COMP_CNT: 0
	.section	.text._ZN9rocsolver6v33100L26stedcx_mergePrepare_kernelIdEEviiPT_lS3_lS3_iilS3_S3_PiS2_,"axG",@progbits,_ZN9rocsolver6v33100L26stedcx_mergePrepare_kernelIdEEviiPT_lS3_lS3_iilS3_S3_PiS2_,comdat
	.globl	_ZN9rocsolver6v33100L26stedcx_mergePrepare_kernelIdEEviiPT_lS3_lS3_iilS3_S3_PiS2_ ; -- Begin function _ZN9rocsolver6v33100L26stedcx_mergePrepare_kernelIdEEviiPT_lS3_lS3_iilS3_S3_PiS2_
	.p2align	8
	.type	_ZN9rocsolver6v33100L26stedcx_mergePrepare_kernelIdEEviiPT_lS3_lS3_iilS3_S3_PiS2_,@function
_ZN9rocsolver6v33100L26stedcx_mergePrepare_kernelIdEEviiPT_lS3_lS3_iilS3_S3_PiS2_: ; @_ZN9rocsolver6v33100L26stedcx_mergePrepare_kernelIdEEviiPT_lS3_lS3_iilS3_S3_PiS2_
; %bb.0:
	s_clause 0x2
	s_load_b128 s[24:27], s[0:1], 0x28
	s_load_b256 s[4:11], s[0:1], 0x38
	s_load_b64 s[2:3], s[0:1], 0x58
	s_waitcnt lgkmcnt(0)
	s_cmp_lg_u64 s[24:25], 0
	s_cbranch_scc0 .LBB22_78
; %bb.1:
	s_mul_i32 s5, s15, s5
	s_mul_hi_u32 s12, s15, s4
	s_ashr_i32 s37, s15, 31
	s_add_i32 s5, s12, s5
	s_mul_i32 s12, s37, s4
	s_mul_i32 s4, s15, s4
	s_add_i32 s5, s5, s12
	s_ashr_i32 s17, s26, 31
	s_lshl_b64 s[4:5], s[4:5], 3
	s_mov_b32 s16, s26
	s_add_u32 s12, s24, s4
	s_addc_u32 s18, s25, s5
	s_lshl_b64 s[4:5], s[16:17], 3
	s_delay_alu instid0(SALU_CYCLE_1)
	s_add_u32 s4, s12, s4
	s_addc_u32 s5, s18, s5
	s_cbranch_execnz .LBB22_3
.LBB22_2:
	s_ashr_i32 s37, s15, 31
                                        ; implicit-def: $sgpr4_sgpr5
.LBB22_3:
	s_load_b64 s[24:25], s[0:1], 0x0
	s_waitcnt lgkmcnt(0)
	s_mul_i32 s12, s25, 5
	s_delay_alu instid0(SALU_CYCLE_1) | instskip(NEXT) | instid1(SALU_CYCLE_1)
	s_add_i32 s12, s12, 2
	s_mul_i32 s16, s12, s15
	s_delay_alu instid0(SALU_CYCLE_1) | instskip(NEXT) | instid1(SALU_CYCLE_1)
	s_ashr_i32 s17, s16, 31
	s_lshl_b64 s[30:31], s[16:17], 2
	s_mov_b32 s16, s25
	s_add_u32 s12, s10, s30
	s_addc_u32 s26, s11, s31
	s_ashr_i32 s17, s25, 31
	s_delay_alu instid0(SALU_CYCLE_1) | instskip(NEXT) | instid1(SALU_CYCLE_1)
	s_lshl_b64 s[34:35], s[16:17], 2
	s_add_u32 s28, s12, s34
	s_addc_u32 s29, s26, s35
	s_load_b32 s33, s[28:29], 0x4
	s_waitcnt lgkmcnt(0)
	s_cmp_ge_i32 s14, s33
	s_cbranch_scc1 .LBB22_77
; %bb.4:
	s_load_b256 s[16:23], s[0:1], 0x8
	s_bfm_b32 s53, s24, 0
	v_dual_mov_b32 v3, 0 :: v_dual_lshlrev_b32 v6, 3, v0
	s_delay_alu instid0(VALU_DEP_1)
	v_add_nc_u32_e32 v28, 0, v6
	s_waitcnt lgkmcnt(0)
	s_mul_i32 s19, s15, s19
	s_mul_hi_u32 s36, s15, s18
	s_mul_i32 s38, s37, s18
	s_add_i32 s19, s36, s19
	s_mul_i32 s18, s15, s18
	s_add_i32 s19, s19, s38
	s_mul_i32 s23, s15, s23
	s_lshl_b64 s[18:19], s[18:19], 3
	s_mul_hi_u32 s38, s15, s22
	s_add_u32 s36, s16, s18
	s_mul_i32 s39, s37, s22
	s_addc_u32 s37, s17, s19
	s_add_i32 s17, s38, s23
	s_mul_i32 s16, s15, s22
	s_add_i32 s17, s17, s39
	s_load_b32 s22, s[0:1], 0x6c
	s_lshl_b64 s[16:17], s[16:17], 3
	s_delay_alu instid0(SALU_CYCLE_1)
	s_add_u32 s20, s20, s16
	s_addc_u32 s21, s21, s17
	s_add_u32 s38, s28, s34
	s_addc_u32 s39, s29, s35
	;; [unrolled: 2-line block ×3, first 2 shown]
	s_lshl_b32 s15, s15, 1
	s_mul_i32 s16, s25, s25
	s_mul_i32 s0, s15, s25
	;; [unrolled: 1-line block ×3, first 2 shown]
	s_ashr_i32 s1, s0, 31
	s_mov_b32 s17, 0
	s_lshl_b64 s[0:1], s[0:1], 3
	s_delay_alu instid0(SALU_CYCLE_1) | instskip(SKIP_2) | instid1(SALU_CYCLE_1)
	s_add_u32 s40, s6, s0
	s_addc_u32 s41, s7, s1
	s_ashr_i32 s19, s18, 31
	s_lshl_b64 s[0:1], s[18:19], 3
	s_delay_alu instid0(SALU_CYCLE_1) | instskip(SKIP_2) | instid1(SALU_CYCLE_1)
	s_add_u32 s6, s8, s0
	s_addc_u32 s7, s9, s1
	s_lshl_b64 s[0:1], s[16:17], 3
	s_add_u32 s42, s6, s0
	s_addc_u32 s43, s7, s1
	s_waitcnt lgkmcnt(0)
	s_and_b32 s44, s22, 0xffff
	s_mov_b32 s6, 0x667f3bcd
	s_lshl_b32 s0, s44, 3
	s_mov_b32 s7, 0x3ff6a09e
	s_add_i32 s45, s0, 0
	s_add_u32 s46, s4, -8
	s_addc_u32 s47, s5, -1
	s_bfe_u32 s48, s22, 0xf0001
	s_lshl_b32 s0, 1, s24
	v_cvt_f32_u32_e32 v1, s48
	s_lshl_b32 s59, 2, s24
	s_not_b32 s49, s24
	s_cmp_gt_i32 s0, 1
	s_mul_i32 s8, s59, s13
	v_rcp_iflag_f32_e32 v1, v1
	s_cselect_b32 s50, -1, 0
	s_ashr_i32 s9, s8, 31
	s_cmp_gt_i32 s59, 1
	v_add_nc_u32_e32 v29, s45, v6
	s_cselect_b32 s51, -1, 0
	s_cmp_gt_i32 s25, 0
	v_cmp_gt_u32_e64 s1, s48, v0
	s_cselect_b32 s52, -1, 0
	s_sub_i32 s0, 0, s48
	s_waitcnt_depctr 0xfff
	v_mul_f32_e32 v1, 0x4f7ffffe, v1
	s_add_u32 s55, s23, 8
	v_cndmask_b32_e64 v8, -8, 0, s1
	s_addc_u32 s56, s56, 0
	s_add_u32 s57, s55, s34
	v_cvt_u32_f32_e32 v1, v1
	s_addc_u32 s58, s56, s35
	s_mul_i32 s54, s27, s48
	s_delay_alu instid0(VALU_DEP_1) | instskip(SKIP_1) | instid1(VALU_DEP_2)
	v_mul_lo_u32 v2, s0, v1
	v_cmp_eq_u32_e64 s0, 0, v0
	v_mul_hi_u32 v2, v1, v2
	s_delay_alu instid0(VALU_DEP_1) | instskip(NEXT) | instid1(VALU_DEP_1)
	v_add_nc_u32_e32 v1, v1, v2
	v_mul_hi_u32 v4, v0, v1
	v_ldexp_f64 v[1:2], s[2:3], 3
	s_add_u32 s2, s34, s30
	s_addc_u32 s3, s35, s31
	s_add_u32 s15, s10, s2
	s_addc_u32 s16, s11, s3
	s_lshl_b32 s17, s44, 2
	s_delay_alu instid0(VALU_DEP_2) | instskip(SKIP_1) | instid1(VALU_DEP_2)
	v_mul_lo_u32 v5, v4, s48
	v_add_nc_u32_e32 v7, 1, v4
	v_sub_nc_u32_e32 v5, v0, v5
	s_delay_alu instid0(VALU_DEP_1) | instskip(SKIP_1) | instid1(VALU_DEP_2)
	v_subrev_nc_u32_e32 v6, s48, v5
	v_cmp_le_u32_e32 vcc_lo, s48, v5
	v_dual_cndmask_b32 v4, v4, v7 :: v_dual_cndmask_b32 v5, v5, v6
	v_cndmask_b32_e64 v7, -1, 0, s1
	s_delay_alu instid0(VALU_DEP_2) | instskip(NEXT) | instid1(VALU_DEP_3)
	v_add_nc_u32_e32 v6, 1, v4
	v_cmp_le_u32_e32 vcc_lo, s48, v5
	s_delay_alu instid0(VALU_DEP_2) | instskip(SKIP_2) | instid1(VALU_DEP_3)
	v_cndmask_b32_e32 v9, v4, v6, vcc_lo
	v_add_co_u32 v30, vcc_lo, s20, v8
	v_add_co_ci_u32_e32 v31, vcc_lo, s21, v7, vcc_lo
	v_lshl_add_u32 v4, v9, s24, s8
	s_lshl_b64 s[8:9], s[8:9], 2
	s_and_b32 s24, s17, 0x3fff8
	s_add_u32 s2, s2, s8
	s_addc_u32 s3, s3, s9
	v_ashrrev_i32_e32 v5, 31, v4
	s_add_u32 s2, s2, s10
	s_addc_u32 s3, s3, s11
	s_add_u32 s34, s2, 12
	s_addc_u32 s35, s3, 0
	v_lshlrev_b64 v[5:6], 2, v[4:5]
	v_mul_lo_u32 v4, v9, s48
	s_add_i32 s59, s59, -1
	s_delay_alu instid0(VALU_DEP_2) | instskip(NEXT) | instid1(VALU_DEP_3)
	v_add_co_u32 v7, vcc_lo, s15, v5
	v_add_co_ci_u32_e32 v8, vcc_lo, s16, v6, vcc_lo
	s_delay_alu instid0(VALU_DEP_3) | instskip(NEXT) | instid1(VALU_DEP_3)
	v_sub_nc_u32_e32 v32, v0, v4
	v_add_co_u32 v33, vcc_lo, v7, 12
	s_delay_alu instid0(VALU_DEP_3)
	v_add_co_ci_u32_e32 v34, vcc_lo, 0, v8, vcc_lo
	s_branch .LBB22_6
.LBB22_5:                               ;   in Loop: Header=BB22_6 Depth=1
	s_set_inst_prefetch_distance 0x2
	s_add_i32 s14, s14, 8
	s_delay_alu instid0(SALU_CYCLE_1)
	s_cmp_ge_i32 s14, s33
	s_cbranch_scc1 .LBB22_77
.LBB22_6:                               ; =>This Loop Header: Depth=1
                                        ;     Child Loop BB22_14 Depth 2
                                        ;     Child Loop BB22_17 Depth 2
	;; [unrolled: 1-line block ×7, first 2 shown]
                                        ;       Child Loop BB22_37 Depth 3
                                        ;         Child Loop BB22_68 Depth 4
                                        ;     Child Loop BB22_73 Depth 2
	s_ashr_i32 s15, s14, 31
	s_delay_alu instid0(SALU_CYCLE_1)
	s_lshl_b64 s[2:3], s[14:15], 2
	s_waitcnt_vscnt null, 0x0
	s_barrier
	s_add_u32 s2, s12, s2
	s_addc_u32 s3, s26, s3
	buffer_gl0_inv
	global_load_b64 v[7:8], v3, s[2:3]
	s_mov_b32 s10, 0
	s_waitcnt vmcnt(0)
	v_readfirstlane_b32 s2, v7
	v_readfirstlane_b32 s3, v8
	s_delay_alu instid0(VALU_DEP_1) | instskip(NEXT) | instid1(SALU_CYCLE_1)
	s_sub_i32 s3, s3, s2
	s_cmp_lt_i32 s3, 3
	s_cbranch_scc1 .LBB22_11
; %bb.7:                                ;   in Loop: Header=BB22_6 Depth=1
	s_cmp_lt_u32 s3, 5
	s_mov_b32 s10, 1
	s_cbranch_scc1 .LBB22_11
; %bb.8:                                ;   in Loop: Header=BB22_6 Depth=1
	s_cmp_lt_u32 s3, 33
	s_mov_b32 s10, 2
	s_cbranch_scc1 .LBB22_11
; %bb.9:                                ;   in Loop: Header=BB22_6 Depth=1
	s_cmpk_lt_u32 s3, 0xe9
	s_mov_b32 s10, 4
	s_cbranch_scc1 .LBB22_11
; %bb.10:                               ;   in Loop: Header=BB22_6 Depth=1
	s_cmpk_lt_u32 s3, 0x128
	s_cselect_b32 s10, 5, 7
	s_cmpk_lt_u32 s3, 0x79b
	s_cselect_b32 s10, s10, 8
.LBB22_11:                              ;   in Loop: Header=BB22_6 Depth=1
	s_delay_alu instid0(SALU_CYCLE_1) | instskip(NEXT) | instid1(SALU_CYCLE_1)
	s_add_i32 s3, s10, s49
	s_lshl_b32 s10, 1, s3
	s_cmp_gt_i32 s3, -1
	s_cselect_b32 s3, s10, 0
	s_delay_alu instid0(SALU_CYCLE_1)
	s_cmp_ge_i32 s13, s3
	s_cbranch_scc1 .LBB22_5
; %bb.12:                               ;   in Loop: Header=BB22_6 Depth=1
	s_ashr_i32 s3, s2, 31
	s_delay_alu instid0(SALU_CYCLE_1) | instskip(NEXT) | instid1(SALU_CYCLE_1)
	s_lshl_b64 s[10:11], s[2:3], 2
	s_add_u32 s15, s28, s10
	s_addc_u32 s18, s29, s11
	s_add_u32 s16, s38, s10
	s_addc_u32 s17, s39, s11
	v_add_co_u32 v7, vcc_lo, s16, v5
	v_add_co_ci_u32_e32 v8, vcc_lo, s17, v6, vcc_lo
	v_add_co_u32 v9, vcc_lo, s15, v5
	v_add_co_ci_u32_e32 v10, vcc_lo, s18, v6, vcc_lo
	s_and_not1_b32 vcc_lo, exec_lo, s50
	s_clause 0x1
	global_load_b32 v14, v[7:8], off offset:8
	global_load_b32 v9, v[9:10], off offset:8
	s_cbranch_vccnz .LBB22_15
; %bb.13:                               ;   in Loop: Header=BB22_6 Depth=1
	v_add_co_u32 v7, vcc_lo, v33, s10
	v_add_co_ci_u32_e32 v8, vcc_lo, s11, v34, vcc_lo
	s_mov_b32 s2, s53
.LBB22_14:                              ;   Parent Loop BB22_6 Depth=1
                                        ; =>  This Inner Loop Header: Depth=2
	global_load_b32 v4, v[7:8], off
	v_add_co_u32 v7, vcc_lo, v7, 4
	v_add_co_ci_u32_e32 v8, vcc_lo, 0, v8, vcc_lo
	s_add_i32 s2, s2, -1
	s_delay_alu instid0(SALU_CYCLE_1)
	s_cmp_eq_u32 s2, 0
	s_waitcnt vmcnt(0)
	v_add_nc_u32_e32 v9, v4, v9
	s_cbranch_scc0 .LBB22_14
.LBB22_15:                              ;   in Loop: Header=BB22_6 Depth=1
	s_waitcnt vmcnt(0)
	s_delay_alu instid0(VALU_DEP_1) | instskip(SKIP_3) | instid1(VALU_DEP_3)
	v_add3_u32 v4, v14, v9, -1
	v_mov_b32_e32 v10, 0
	v_mov_b32_e32 v11, 0
	s_mov_b32 s19, exec_lo
	v_cndmask_b32_e64 v7, v14, v4, s1
	s_delay_alu instid0(VALU_DEP_2) | instskip(NEXT) | instid1(VALU_DEP_2)
	v_dual_mov_b32 v13, v11 :: v_dual_mov_b32 v12, v10
	v_ashrrev_i32_e32 v8, 31, v7
	s_delay_alu instid0(VALU_DEP_1) | instskip(NEXT) | instid1(VALU_DEP_1)
	v_lshlrev_b64 v[7:8], 3, v[7:8]
	v_add_co_u32 v7, vcc_lo, v30, v7
	s_delay_alu instid0(VALU_DEP_2)
	v_add_co_ci_u32_e32 v8, vcc_lo, v31, v8, vcc_lo
	global_load_b64 v[7:8], v[7:8], off
	v_cmpx_lt_i32_e64 v32, v9
	s_cbranch_execz .LBB22_21
; %bb.16:                               ;   in Loop: Header=BB22_6 Depth=1
	v_ashrrev_i32_e32 v15, 31, v14
	v_add_nc_u32_e32 v11, v32, v14
	v_ashrrev_i32_e32 v10, 31, v9
	s_mov_b32 s3, 0
	s_delay_alu instid0(VALU_DEP_3) | instskip(NEXT) | instid1(VALU_DEP_3)
	v_lshlrev_b64 v[13:14], 3, v[14:15]
	v_ashrrev_i32_e32 v12, 31, v11
	s_delay_alu instid0(VALU_DEP_3) | instskip(NEXT) | instid1(VALU_DEP_3)
	v_lshlrev_b64 v[15:16], 3, v[9:10]
	v_add_co_u32 v4, vcc_lo, s46, v13
	s_delay_alu instid0(VALU_DEP_4) | instskip(SKIP_2) | instid1(VALU_DEP_4)
	v_add_co_ci_u32_e32 v10, vcc_lo, s47, v14, vcc_lo
	v_add_co_u32 v13, vcc_lo, s4, v13
	v_add_co_ci_u32_e32 v17, vcc_lo, s5, v14, vcc_lo
	v_add_co_u32 v18, vcc_lo, v4, v15
	v_lshlrev_b64 v[14:15], 3, v[11:12]
	v_add_co_ci_u32_e32 v4, vcc_lo, v10, v16, vcc_lo
	v_mul_lo_u32 v10, s27, v11
	s_delay_alu instid0(VALU_DEP_4) | instskip(NEXT) | instid1(VALU_DEP_4)
	v_cndmask_b32_e64 v16, v13, v18, s1
	v_add_co_u32 v12, vcc_lo, s40, v14
	s_delay_alu instid0(VALU_DEP_4)
	v_cndmask_b32_e64 v4, v17, v4, s1
	v_add_co_ci_u32_e32 v13, vcc_lo, s41, v15, vcc_lo
	v_mov_b32_e32 v17, v32
	s_set_inst_prefetch_distance 0x1
	.p2align	6
.LBB22_17:                              ;   Parent Loop BB22_6 Depth=1
                                        ; =>  This Inner Loop Header: Depth=2
	v_ashrrev_i32_e32 v11, 31, v10
	s_delay_alu instid0(VALU_DEP_2) | instskip(NEXT) | instid1(VALU_DEP_2)
	v_add_nc_u32_e32 v17, s48, v17
	v_lshlrev_b64 v[18:19], 3, v[10:11]
	v_add_nc_u32_e32 v10, s54, v10
	s_delay_alu instid0(VALU_DEP_2) | instskip(NEXT) | instid1(VALU_DEP_3)
	v_add_co_u32 v18, vcc_lo, v16, v18
	v_add_co_ci_u32_e32 v19, vcc_lo, v4, v19, vcc_lo
	flat_load_b64 v[18:19], v[18:19]
	s_waitcnt vmcnt(0) lgkmcnt(0)
	v_div_scale_f64 v[20:21], null, s[6:7], s[6:7], v[18:19]
	v_div_scale_f64 v[26:27], vcc_lo, v[18:19], s[6:7], v[18:19]
	s_delay_alu instid0(VALU_DEP_2) | instskip(SKIP_2) | instid1(VALU_DEP_1)
	v_rcp_f64_e32 v[22:23], v[20:21]
	s_waitcnt_depctr 0xfff
	v_fma_f64 v[24:25], -v[20:21], v[22:23], 1.0
	v_fma_f64 v[22:23], v[22:23], v[24:25], v[22:23]
	s_delay_alu instid0(VALU_DEP_1) | instskip(NEXT) | instid1(VALU_DEP_1)
	v_fma_f64 v[24:25], -v[20:21], v[22:23], 1.0
	v_fma_f64 v[22:23], v[22:23], v[24:25], v[22:23]
	s_delay_alu instid0(VALU_DEP_1) | instskip(NEXT) | instid1(VALU_DEP_1)
	v_mul_f64 v[24:25], v[26:27], v[22:23]
	v_fma_f64 v[20:21], -v[20:21], v[24:25], v[26:27]
	s_delay_alu instid0(VALU_DEP_1) | instskip(SKIP_2) | instid1(VALU_DEP_2)
	v_div_fmas_f64 v[20:21], v[20:21], v[22:23], v[24:25]
	v_cmp_ge_i32_e32 vcc_lo, v17, v9
	s_or_b32 s3, vcc_lo, s3
	v_div_fixup_f64 v[18:19], v[20:21], s[6:7], v[18:19]
	global_store_b64 v[12:13], v[18:19], off
	v_add_co_u32 v12, s2, v12, s24
	s_delay_alu instid0(VALU_DEP_1)
	v_add_co_ci_u32_e64 v13, s2, 0, v13, s2
	s_and_not1_b32 exec_lo, exec_lo, s3
	s_cbranch_execnz .LBB22_17
; %bb.18:                               ;   in Loop: Header=BB22_6 Depth=1
	s_set_inst_prefetch_distance 0x2
	s_or_b32 exec_lo, exec_lo, s3
	v_mov_b32_e32 v10, 0
	v_dual_mov_b32 v11, 0 :: v_dual_mov_b32 v4, v32
	s_mov_b32 s20, 0
	s_delay_alu instid0(VALU_DEP_1)
	v_dual_mov_b32 v13, v11 :: v_dual_mov_b32 v12, v10
	s_set_inst_prefetch_distance 0x1
	.p2align	6
.LBB22_19:                              ;   Parent Loop BB22_6 Depth=1
                                        ; =>  This Inner Loop Header: Depth=2
	v_add_co_u32 v16, vcc_lo, s36, v14
	v_add_co_ci_u32_e32 v17, vcc_lo, s37, v15, vcc_lo
	v_add_co_u32 v18, vcc_lo, s40, v14
	v_add_co_ci_u32_e32 v19, vcc_lo, s41, v15, vcc_lo
	v_add_nc_u32_e32 v4, s48, v4
	global_load_b64 v[16:17], v[16:17], off
	global_load_b64 v[18:19], v[18:19], off
	v_add_co_u32 v14, s3, v14, s24
	s_delay_alu instid0(VALU_DEP_1) | instskip(SKIP_1) | instid1(VALU_DEP_1)
	v_add_co_ci_u32_e64 v15, s3, 0, v15, s3
	v_cmp_ge_i32_e64 s3, v4, v9
	s_or_b32 s20, s3, s20
	s_waitcnt vmcnt(1)
	v_cmp_gt_f64_e64 vcc_lo, |v[16:17]|, v[12:13]
	s_waitcnt vmcnt(0)
	v_cmp_gt_f64_e64 s2, |v[18:19]|, v[10:11]
	v_and_b32_e32 v20, 0x7fffffff, v17
	v_dual_cndmask_b32 v12, v12, v16 :: v_dual_and_b32 v21, 0x7fffffff, v19
	s_delay_alu instid0(VALU_DEP_2) | instskip(NEXT) | instid1(VALU_DEP_2)
	v_cndmask_b32_e32 v13, v13, v20, vcc_lo
	v_cndmask_b32_e64 v11, v11, v21, s2
	v_cndmask_b32_e64 v10, v10, v18, s2
	s_and_not1_b32 exec_lo, exec_lo, s20
	s_cbranch_execnz .LBB22_19
; %bb.20:                               ;   in Loop: Header=BB22_6 Depth=1
	s_set_inst_prefetch_distance 0x2
	s_or_b32 exec_lo, exec_lo, s20
.LBB22_21:                              ;   in Loop: Header=BB22_6 Depth=1
	s_delay_alu instid0(SALU_CYCLE_1)
	s_or_b32 exec_lo, exec_lo, s19
	s_mov_b32 s3, s48
	ds_store_b64 v28, v[12:13]
	ds_store_b64 v29, v[10:11]
	s_waitcnt vmcnt(0) lgkmcnt(0)
	s_waitcnt_vscnt null, 0x0
	s_barrier
	buffer_gl0_inv
	s_set_inst_prefetch_distance 0x1
	s_branch .LBB22_23
	.p2align	6
.LBB22_22:                              ;   in Loop: Header=BB22_23 Depth=2
	s_or_b32 exec_lo, exec_lo, s19
	s_lshr_b32 s2, s3, 1
	s_cmp_gt_u32 s3, 1
	s_mov_b32 s3, s2
	s_waitcnt lgkmcnt(0)
	s_barrier
	buffer_gl0_inv
	s_cbranch_scc0 .LBB22_25
.LBB22_23:                              ;   Parent Loop BB22_6 Depth=1
                                        ; =>  This Inner Loop Header: Depth=2
	s_mov_b32 s19, exec_lo
	v_cmpx_gt_u32_e64 s3, v0
	s_cbranch_execz .LBB22_22
; %bb.24:                               ;   in Loop: Header=BB22_23 Depth=2
	s_lshl_b32 s2, s3, 3
	s_delay_alu instid0(SALU_CYCLE_1)
	v_add_nc_u32_e32 v4, s2, v28
	v_add_nc_u32_e32 v9, s2, v29
	ds_load_b64 v[14:15], v4
	ds_load_b64 v[16:17], v9
	s_waitcnt lgkmcnt(1)
	v_cmp_gt_f64_e32 vcc_lo, v[14:15], v[12:13]
	s_waitcnt lgkmcnt(0)
	v_cmp_gt_f64_e64 s2, v[16:17], v[10:11]
	v_dual_cndmask_b32 v12, v12, v14 :: v_dual_cndmask_b32 v13, v13, v15
	s_delay_alu instid0(VALU_DEP_2)
	v_cndmask_b32_e64 v11, v11, v17, s2
	v_cndmask_b32_e64 v10, v10, v16, s2
	ds_store_b64 v28, v[12:13]
	ds_store_b64 v29, v[10:11]
	s_branch .LBB22_22
.LBB22_25:                              ;   in Loop: Header=BB22_6 Depth=1
	s_set_inst_prefetch_distance 0x2
	s_add_u32 s2, s15, s8
	s_addc_u32 s3, s18, s9
	v_mov_b32_e32 v11, s45
	global_load_b32 v4, v3, s[2:3] offset:8
	ds_load_b64 v[9:10], v3
	ds_load_b64 v[11:12], v11
	s_and_not1_b32 vcc_lo, exec_lo, s51
	s_waitcnt vmcnt(0)
	v_readfirstlane_b32 s15, v4
	s_cbranch_vccnz .LBB22_28
; %bb.26:                               ;   in Loop: Header=BB22_6 Depth=1
	s_add_u32 s2, s34, s10
	s_addc_u32 s3, s35, s11
	s_mov_b32 s10, s59
.LBB22_27:                              ;   Parent Loop BB22_6 Depth=1
                                        ; =>  This Inner Loop Header: Depth=2
	global_load_b32 v4, v3, s[2:3]
	s_waitcnt vmcnt(0)
	v_readfirstlane_b32 s11, v4
	s_delay_alu instid0(VALU_DEP_1) | instskip(SKIP_3) | instid1(SALU_CYCLE_1)
	s_add_i32 s15, s11, s15
	s_add_u32 s2, s2, 4
	s_addc_u32 s3, s3, 0
	s_add_i32 s10, s10, -1
	s_cmp_eq_u32 s10, 0
	s_cbranch_scc0 .LBB22_27
.LBB22_28:                              ;   in Loop: Header=BB22_6 Depth=1
	s_add_u32 s2, s16, s8
	s_addc_u32 s3, s17, s9
	s_waitcnt lgkmcnt(0)
	v_cmp_gt_f64_e32 vcc_lo, v[11:12], v[9:10]
	global_load_b32 v4, v3, s[2:3] offset:8
	v_add_f64 v[7:8], v[7:8], v[7:8]
	s_mov_b32 s3, exec_lo
	v_dual_cndmask_b32 v10, v10, v12 :: v_dual_cndmask_b32 v9, v9, v11
	s_delay_alu instid0(VALU_DEP_1)
	v_mul_f64 v[9:10], v[1:2], v[9:10]
	s_waitcnt vmcnt(0)
	v_readfirstlane_b32 s10, v4
	v_cmpx_gt_i32_e64 s15, v0
	s_cbranch_execz .LBB22_31
; %bb.29:                               ;   in Loop: Header=BB22_6 Depth=1
	v_mov_b32_e32 v4, v0
	s_mov_b32 s11, 0
	.p2align	6
.LBB22_30:                              ;   Parent Loop BB22_6 Depth=1
                                        ; =>  This Inner Loop Header: Depth=2
	s_delay_alu instid0(VALU_DEP_1) | instskip(SKIP_1) | instid1(VALU_DEP_2)
	v_add_nc_u32_e32 v11, s10, v4
	v_add_nc_u32_e32 v4, s44, v4
	v_ashrrev_i32_e32 v12, 31, v11
	s_delay_alu instid0(VALU_DEP_1) | instskip(SKIP_1) | instid1(VALU_DEP_2)
	v_lshlrev_b64 v[13:14], 3, v[11:12]
	v_lshlrev_b64 v[11:12], 2, v[11:12]
	v_add_co_u32 v13, vcc_lo, s40, v13
	s_delay_alu instid0(VALU_DEP_3) | instskip(NEXT) | instid1(VALU_DEP_3)
	v_add_co_ci_u32_e32 v14, vcc_lo, s41, v14, vcc_lo
	v_add_co_u32 v11, s2, s55, v11
	s_delay_alu instid0(VALU_DEP_1)
	v_add_co_ci_u32_e64 v12, s2, s56, v12, s2
	global_load_b64 v[13:14], v[13:14], off
	v_cmp_le_i32_e32 vcc_lo, s15, v4
	s_or_b32 s11, vcc_lo, s11
	s_waitcnt vmcnt(0)
	v_mul_f64 v[13:14], v[7:8], v[13:14]
	s_delay_alu instid0(VALU_DEP_1) | instskip(NEXT) | instid1(VALU_DEP_1)
	v_cmp_nle_f64_e64 s2, |v[13:14]|, v[9:10]
	v_cndmask_b32_e64 v13, 0, 1, s2
	global_store_b32 v[11:12], v13, off
	s_and_not1_b32 exec_lo, exec_lo, s11
	s_cbranch_execnz .LBB22_30
.LBB22_31:                              ;   in Loop: Header=BB22_6 Depth=1
	s_or_b32 exec_lo, exec_lo, s3
	s_and_b32 s2, s15, 0x80000001
	s_waitcnt_vscnt null, 0x0
	s_cmp_eq_u32 s2, 1
	s_barrier
	s_cselect_b32 s2, -1, 0
	buffer_gl0_inv
	s_cmp_lg_u32 s2, 0
	s_addc_u32 s11, s15, 0
	s_delay_alu instid0(SALU_CYCLE_1)
	s_cmp_lt_i32 s11, 2
	s_cbranch_scc1 .LBB22_69
; %bb.32:                               ;   in Loop: Header=BB22_6 Depth=1
	s_lshr_b32 s2, s11, 31
	s_add_i32 s17, s11, -1
	s_add_i32 s2, s11, s2
	s_add_i32 s19, s11, -2
	s_ashr_i32 s16, s2, 1
	s_mov_b32 s20, 0
	v_cmp_gt_i32_e64 s2, s16, v0
	s_add_i32 s18, s16, -1
	s_branch .LBB22_34
.LBB22_33:                              ;   in Loop: Header=BB22_34 Depth=2
	s_or_b32 exec_lo, exec_lo, s21
	s_add_i32 s20, s20, 1
	s_delay_alu instid0(SALU_CYCLE_1)
	s_cmp_eq_u32 s20, s17
	s_cbranch_scc1 .LBB22_69
.LBB22_34:                              ;   Parent Loop BB22_6 Depth=1
                                        ; =>  This Loop Header: Depth=2
                                        ;       Child Loop BB22_37 Depth 3
                                        ;         Child Loop BB22_68 Depth 4
	s_delay_alu instid0(VALU_DEP_1)
	s_and_saveexec_b32 s21, s2
	s_cbranch_execz .LBB22_33
; %bb.35:                               ;   in Loop: Header=BB22_34 Depth=2
	v_mov_b32_e32 v35, v0
	s_mov_b32 s22, 0
	s_branch .LBB22_37
.LBB22_36:                              ;   in Loop: Header=BB22_37 Depth=3
	s_or_b32 exec_lo, exec_lo, s23
	v_add_nc_u32_e32 v35, s44, v35
	s_waitcnt lgkmcnt(0)
	s_waitcnt_vscnt null, 0x0
	s_barrier
	buffer_gl0_inv
	v_cmp_le_i32_e32 vcc_lo, s16, v35
	s_or_b32 s22, vcc_lo, s22
	s_delay_alu instid0(SALU_CYCLE_1)
	s_and_not1_b32 exec_lo, exec_lo, s22
	s_cbranch_execz .LBB22_33
.LBB22_37:                              ;   Parent Loop BB22_6 Depth=1
                                        ;     Parent Loop BB22_34 Depth=2
                                        ; =>    This Loop Header: Depth=3
                                        ;         Child Loop BB22_68 Depth 4
	v_mov_b32_e32 v4, 0
	s_mov_b32 s3, exec_lo
	v_cmpx_ne_u32_e32 0, v35
	s_cbranch_execz .LBB22_45
; %bb.38:                               ;   in Loop: Header=BB22_37 Depth=3
	v_subrev_nc_u32_e32 v11, s20, v35
	s_mov_b32 s23, exec_lo
	s_delay_alu instid0(VALU_DEP_1)
	v_lshlrev_b32_e32 v4, 1, v11
	v_cmpx_ge_u32_e64 s20, v35
	s_cbranch_execz .LBB22_44
; %bb.39:                               ;   in Loop: Header=BB22_37 Depth=3
	v_add_nc_u32_e32 v12, s18, v35
	s_mov_b32 s30, exec_lo
	s_delay_alu instid0(VALU_DEP_1)
	v_cmpx_le_i32_e64 s20, v12
	s_xor_b32 s30, exec_lo, s30
; %bb.40:                               ;   in Loop: Header=BB22_37 Depth=3
	v_sub_nc_u32_e32 v4, 1, v4
                                        ; implicit-def: $vgpr11
; %bb.41:                               ;   in Loop: Header=BB22_37 Depth=3
	s_and_not1_saveexec_b32 s30, s30
; %bb.42:                               ;   in Loop: Header=BB22_37 Depth=3
	v_add_lshl_u32 v4, v11, s17, 1
; %bb.43:                               ;   in Loop: Header=BB22_37 Depth=3
	s_or_b32 exec_lo, exec_lo, s30
.LBB22_44:                              ;   in Loop: Header=BB22_37 Depth=3
	s_delay_alu instid0(SALU_CYCLE_1)
	s_or_b32 exec_lo, exec_lo, s23
.LBB22_45:                              ;   in Loop: Header=BB22_37 Depth=3
	s_delay_alu instid0(SALU_CYCLE_1) | instskip(SKIP_3) | instid1(VALU_DEP_2)
	s_or_b32 exec_lo, exec_lo, s3
	v_sub_nc_u32_e32 v12, s16, v35
	v_add_nc_u32_e32 v11, s20, v35
	s_mov_b32 s3, exec_lo
                                        ; implicit-def: $vgpr13
	v_cmpx_ge_i32_e64 s20, v12
	s_xor_b32 s3, exec_lo, s3
	s_cbranch_execz .LBB22_51
; %bb.46:                               ;   in Loop: Header=BB22_37 Depth=3
	v_sub_nc_u32_e32 v12, s19, v35
	s_mov_b32 s23, exec_lo
                                        ; implicit-def: $vgpr13
	s_delay_alu instid0(VALU_DEP_1)
	v_cmpx_le_i32_e64 s20, v12
	s_xor_b32 s23, exec_lo, s23
; %bb.47:                               ;   in Loop: Header=BB22_37 Depth=3
	v_sub_nc_u32_e32 v11, s17, v11
	s_delay_alu instid0(VALU_DEP_1)
	v_lshlrev_b32_e32 v13, 1, v11
                                        ; implicit-def: $vgpr11
; %bb.48:                               ;   in Loop: Header=BB22_37 Depth=3
	s_and_not1_saveexec_b32 s23, s23
; %bb.49:                               ;   in Loop: Header=BB22_37 Depth=3
	v_subrev_nc_u32_e32 v11, s11, v11
	s_delay_alu instid0(VALU_DEP_1)
	v_lshl_add_u32 v13, v11, 1, 3
; %bb.50:                               ;   in Loop: Header=BB22_37 Depth=3
	s_or_b32 exec_lo, exec_lo, s23
                                        ; implicit-def: $vgpr11
.LBB22_51:                              ;   in Loop: Header=BB22_37 Depth=3
	s_and_not1_saveexec_b32 s3, s3
; %bb.52:                               ;   in Loop: Header=BB22_37 Depth=3
	v_lshl_or_b32 v13, v11, 1, 1
; %bb.53:                               ;   in Loop: Header=BB22_37 Depth=3
	s_or_b32 exec_lo, exec_lo, s3
	s_delay_alu instid0(VALU_DEP_1) | instskip(SKIP_1) | instid1(VALU_DEP_1)
	v_min_i32_e32 v11, v4, v13
	s_mov_b32 s23, exec_lo
	v_add_nc_u32_e32 v11, s10, v11
	s_delay_alu instid0(VALU_DEP_1) | instskip(NEXT) | instid1(VALU_DEP_1)
	v_ashrrev_i32_e32 v12, 31, v11
	v_lshlrev_b64 v[14:15], 2, v[11:12]
	s_delay_alu instid0(VALU_DEP_1) | instskip(NEXT) | instid1(VALU_DEP_2)
	v_add_co_u32 v14, vcc_lo, s55, v14
	v_add_co_ci_u32_e32 v15, vcc_lo, s56, v15, vcc_lo
	global_load_b32 v14, v[14:15], off
	s_waitcnt vmcnt(0)
	v_cmpx_eq_u32_e32 1, v14
	s_cbranch_execz .LBB22_36
; %bb.54:                               ;   in Loop: Header=BB22_37 Depth=3
	v_max_i32_e32 v4, v4, v13
	s_delay_alu instid0(VALU_DEP_1) | instskip(SKIP_1) | instid1(VALU_DEP_2)
	v_add_nc_u32_e32 v13, s10, v4
	v_cmp_gt_i32_e64 s3, s15, v4
	v_ashrrev_i32_e32 v14, 31, v13
	s_delay_alu instid0(VALU_DEP_1) | instskip(NEXT) | instid1(VALU_DEP_1)
	v_lshlrev_b64 v[15:16], 2, v[13:14]
	v_add_co_u32 v26, vcc_lo, s55, v15
	s_delay_alu instid0(VALU_DEP_2) | instskip(SKIP_4) | instid1(SALU_CYCLE_1)
	v_add_co_ci_u32_e32 v27, vcc_lo, s56, v16, vcc_lo
	global_load_b32 v15, v[26:27], off
	s_waitcnt vmcnt(0)
	v_cmp_eq_u32_e32 vcc_lo, 1, v15
	s_and_b32 s3, vcc_lo, s3
	s_and_b32 exec_lo, exec_lo, s3
	s_cbranch_execz .LBB22_36
; %bb.55:                               ;   in Loop: Header=BB22_37 Depth=3
	v_lshlrev_b64 v[16:17], 3, v[11:12]
	v_lshlrev_b64 v[14:15], 3, v[13:14]
	s_delay_alu instid0(VALU_DEP_2) | instskip(NEXT) | instid1(VALU_DEP_3)
	v_add_co_u32 v18, vcc_lo, s36, v16
	v_add_co_ci_u32_e32 v19, vcc_lo, s37, v17, vcc_lo
	s_delay_alu instid0(VALU_DEP_3) | instskip(NEXT) | instid1(VALU_DEP_4)
	v_add_co_u32 v20, vcc_lo, s36, v14
	v_add_co_ci_u32_e32 v21, vcc_lo, s37, v15, vcc_lo
	s_clause 0x1
	global_load_b64 v[18:19], v[18:19], off
	global_load_b64 v[20:21], v[20:21], off
	s_waitcnt vmcnt(0)
	v_add_f64 v[18:19], v[18:19], -v[20:21]
	s_delay_alu instid0(VALU_DEP_1) | instskip(NEXT) | instid1(VALU_DEP_1)
	v_cmp_le_f64_e64 s3, |v[18:19]|, v[9:10]
	s_and_b32 exec_lo, exec_lo, s3
	s_cbranch_execz .LBB22_36
; %bb.56:                               ;   in Loop: Header=BB22_37 Depth=3
	v_add_co_u32 v14, vcc_lo, s40, v14
	v_add_co_ci_u32_e32 v15, vcc_lo, s41, v15, vcc_lo
	v_add_co_u32 v16, vcc_lo, s40, v16
	v_add_co_ci_u32_e32 v17, vcc_lo, s41, v17, vcc_lo
	global_load_b64 v[20:21], v[14:15], off
	v_mov_b32_e32 v24, 0
	v_dual_mov_b32 v25, 0x3ff00000 :: v_dual_mov_b32 v22, 0
	global_load_b64 v[18:19], v[16:17], off
	v_mov_b32_e32 v23, 0
	s_mov_b32 s3, exec_lo
	global_store_b32 v[26:27], v3, off
	s_waitcnt vmcnt(1)
	v_cmpx_neq_f64_e32 0, v[20:21]
	s_cbranch_execz .LBB22_66
; %bb.57:                               ;   in Loop: Header=BB22_37 Depth=3
	s_mov_b32 s30, exec_lo
                                        ; implicit-def: $vgpr22_vgpr23
                                        ; implicit-def: $vgpr24_vgpr25
	s_waitcnt vmcnt(0)
	v_cmpx_neq_f64_e32 0, v[18:19]
	s_xor_b32 s30, exec_lo, s30
	s_cbranch_execz .LBB22_63
; %bb.58:                               ;   in Loop: Header=BB22_37 Depth=3
	v_cmp_ngt_f64_e64 s31, |v[20:21]|, |v[18:19]|
                                        ; implicit-def: $vgpr22_vgpr23
                                        ; implicit-def: $vgpr24_vgpr25
	s_delay_alu instid0(VALU_DEP_1) | instskip(NEXT) | instid1(SALU_CYCLE_1)
	s_and_saveexec_b32 s60, s31
	s_xor_b32 s31, exec_lo, s60
	s_cbranch_execz .LBB22_60
; %bb.59:                               ;   in Loop: Header=BB22_37 Depth=3
	v_div_scale_f64 v[22:23], null, v[18:19], v[18:19], -v[20:21]
	v_div_scale_f64 v[36:37], vcc_lo, -v[20:21], v[18:19], -v[20:21]
	s_delay_alu instid0(VALU_DEP_2) | instskip(SKIP_2) | instid1(VALU_DEP_1)
	v_rcp_f64_e32 v[24:25], v[22:23]
	s_waitcnt_depctr 0xfff
	v_fma_f64 v[26:27], -v[22:23], v[24:25], 1.0
	v_fma_f64 v[24:25], v[24:25], v[26:27], v[24:25]
	s_delay_alu instid0(VALU_DEP_1) | instskip(NEXT) | instid1(VALU_DEP_1)
	v_fma_f64 v[26:27], -v[22:23], v[24:25], 1.0
	v_fma_f64 v[24:25], v[24:25], v[26:27], v[24:25]
	s_delay_alu instid0(VALU_DEP_1) | instskip(NEXT) | instid1(VALU_DEP_1)
	v_mul_f64 v[26:27], v[36:37], v[24:25]
	v_fma_f64 v[22:23], -v[22:23], v[26:27], v[36:37]
	s_delay_alu instid0(VALU_DEP_1) | instskip(NEXT) | instid1(VALU_DEP_1)
	v_div_fmas_f64 v[22:23], v[22:23], v[24:25], v[26:27]
	v_div_fixup_f64 v[22:23], v[22:23], v[18:19], -v[20:21]
	s_delay_alu instid0(VALU_DEP_1) | instskip(NEXT) | instid1(VALU_DEP_1)
	v_fma_f64 v[24:25], v[22:23], v[22:23], 1.0
	v_cmp_gt_f64_e32 vcc_lo, 0x10000000, v[24:25]
	v_cndmask_b32_e64 v4, 0, 1, vcc_lo
	s_delay_alu instid0(VALU_DEP_1) | instskip(NEXT) | instid1(VALU_DEP_1)
	v_lshlrev_b32_e32 v4, 8, v4
	v_ldexp_f64 v[24:25], v[24:25], v4
	v_cndmask_b32_e64 v4, 0, 0xffffff80, vcc_lo
	s_delay_alu instid0(VALU_DEP_2) | instskip(SKIP_4) | instid1(VALU_DEP_1)
	v_rsq_f64_e32 v[26:27], v[24:25]
	v_cmp_class_f64_e64 vcc_lo, v[24:25], 0x260
	s_waitcnt_depctr 0xfff
	v_mul_f64 v[36:37], v[24:25], v[26:27]
	v_mul_f64 v[26:27], v[26:27], 0.5
	v_fma_f64 v[38:39], -v[26:27], v[36:37], 0.5
	s_delay_alu instid0(VALU_DEP_1) | instskip(SKIP_1) | instid1(VALU_DEP_2)
	v_fma_f64 v[36:37], v[36:37], v[38:39], v[36:37]
	v_fma_f64 v[26:27], v[26:27], v[38:39], v[26:27]
	v_fma_f64 v[38:39], -v[36:37], v[36:37], v[24:25]
	s_delay_alu instid0(VALU_DEP_1) | instskip(NEXT) | instid1(VALU_DEP_1)
	v_fma_f64 v[36:37], v[38:39], v[26:27], v[36:37]
	v_fma_f64 v[38:39], -v[36:37], v[36:37], v[24:25]
	s_delay_alu instid0(VALU_DEP_1) | instskip(NEXT) | instid1(VALU_DEP_1)
	v_fma_f64 v[26:27], v[38:39], v[26:27], v[36:37]
	v_ldexp_f64 v[26:27], v[26:27], v4
	s_delay_alu instid0(VALU_DEP_1) | instskip(NEXT) | instid1(VALU_DEP_1)
	v_dual_cndmask_b32 v25, v27, v25 :: v_dual_cndmask_b32 v24, v26, v24
	v_div_scale_f64 v[26:27], null, v[24:25], v[24:25], 1.0
	s_delay_alu instid0(VALU_DEP_1) | instskip(SKIP_2) | instid1(VALU_DEP_1)
	v_rcp_f64_e32 v[36:37], v[26:27]
	s_waitcnt_depctr 0xfff
	v_fma_f64 v[38:39], -v[26:27], v[36:37], 1.0
	v_fma_f64 v[36:37], v[36:37], v[38:39], v[36:37]
	s_delay_alu instid0(VALU_DEP_1) | instskip(NEXT) | instid1(VALU_DEP_1)
	v_fma_f64 v[38:39], -v[26:27], v[36:37], 1.0
	v_fma_f64 v[36:37], v[36:37], v[38:39], v[36:37]
	v_div_scale_f64 v[38:39], vcc_lo, 1.0, v[24:25], 1.0
	s_delay_alu instid0(VALU_DEP_1) | instskip(NEXT) | instid1(VALU_DEP_1)
	v_mul_f64 v[40:41], v[38:39], v[36:37]
	v_fma_f64 v[26:27], -v[26:27], v[40:41], v[38:39]
	s_delay_alu instid0(VALU_DEP_1) | instskip(NEXT) | instid1(VALU_DEP_1)
	v_div_fmas_f64 v[26:27], v[26:27], v[36:37], v[40:41]
	v_div_fixup_f64 v[24:25], v[26:27], v[24:25], 1.0
	s_delay_alu instid0(VALU_DEP_1)
	v_mul_f64 v[22:23], v[22:23], v[24:25]
.LBB22_60:                              ;   in Loop: Header=BB22_37 Depth=3
	s_and_not1_saveexec_b32 s31, s31
	s_cbranch_execz .LBB22_62
; %bb.61:                               ;   in Loop: Header=BB22_37 Depth=3
	v_div_scale_f64 v[22:23], null, v[20:21], v[20:21], -v[18:19]
	v_div_scale_f64 v[36:37], vcc_lo, -v[18:19], v[20:21], -v[18:19]
	s_delay_alu instid0(VALU_DEP_2) | instskip(SKIP_2) | instid1(VALU_DEP_1)
	v_rcp_f64_e32 v[24:25], v[22:23]
	s_waitcnt_depctr 0xfff
	v_fma_f64 v[26:27], -v[22:23], v[24:25], 1.0
	v_fma_f64 v[24:25], v[24:25], v[26:27], v[24:25]
	s_delay_alu instid0(VALU_DEP_1) | instskip(NEXT) | instid1(VALU_DEP_1)
	v_fma_f64 v[26:27], -v[22:23], v[24:25], 1.0
	v_fma_f64 v[24:25], v[24:25], v[26:27], v[24:25]
	s_delay_alu instid0(VALU_DEP_1) | instskip(NEXT) | instid1(VALU_DEP_1)
	v_mul_f64 v[26:27], v[36:37], v[24:25]
	v_fma_f64 v[22:23], -v[22:23], v[26:27], v[36:37]
	s_delay_alu instid0(VALU_DEP_1) | instskip(NEXT) | instid1(VALU_DEP_1)
	v_div_fmas_f64 v[22:23], v[22:23], v[24:25], v[26:27]
	v_div_fixup_f64 v[24:25], v[22:23], v[20:21], -v[18:19]
	s_delay_alu instid0(VALU_DEP_1) | instskip(NEXT) | instid1(VALU_DEP_1)
	v_fma_f64 v[22:23], v[24:25], v[24:25], 1.0
	v_cmp_gt_f64_e32 vcc_lo, 0x10000000, v[22:23]
	v_cndmask_b32_e64 v4, 0, 1, vcc_lo
	s_delay_alu instid0(VALU_DEP_1) | instskip(NEXT) | instid1(VALU_DEP_1)
	v_lshlrev_b32_e32 v4, 8, v4
	v_ldexp_f64 v[22:23], v[22:23], v4
	v_cndmask_b32_e64 v4, 0, 0xffffff80, vcc_lo
	s_delay_alu instid0(VALU_DEP_2) | instskip(SKIP_4) | instid1(VALU_DEP_1)
	v_rsq_f64_e32 v[26:27], v[22:23]
	v_cmp_class_f64_e64 vcc_lo, v[22:23], 0x260
	s_waitcnt_depctr 0xfff
	v_mul_f64 v[36:37], v[22:23], v[26:27]
	v_mul_f64 v[26:27], v[26:27], 0.5
	v_fma_f64 v[38:39], -v[26:27], v[36:37], 0.5
	s_delay_alu instid0(VALU_DEP_1) | instskip(SKIP_1) | instid1(VALU_DEP_2)
	v_fma_f64 v[36:37], v[36:37], v[38:39], v[36:37]
	v_fma_f64 v[26:27], v[26:27], v[38:39], v[26:27]
	v_fma_f64 v[38:39], -v[36:37], v[36:37], v[22:23]
	s_delay_alu instid0(VALU_DEP_1) | instskip(NEXT) | instid1(VALU_DEP_1)
	v_fma_f64 v[36:37], v[38:39], v[26:27], v[36:37]
	v_fma_f64 v[38:39], -v[36:37], v[36:37], v[22:23]
	s_delay_alu instid0(VALU_DEP_1) | instskip(NEXT) | instid1(VALU_DEP_1)
	v_fma_f64 v[26:27], v[38:39], v[26:27], v[36:37]
	v_ldexp_f64 v[26:27], v[26:27], v4
	s_delay_alu instid0(VALU_DEP_1) | instskip(NEXT) | instid1(VALU_DEP_1)
	v_dual_cndmask_b32 v23, v27, v23 :: v_dual_cndmask_b32 v22, v26, v22
	v_div_scale_f64 v[26:27], null, v[22:23], v[22:23], 1.0
	s_delay_alu instid0(VALU_DEP_1) | instskip(SKIP_2) | instid1(VALU_DEP_1)
	v_rcp_f64_e32 v[36:37], v[26:27]
	s_waitcnt_depctr 0xfff
	v_fma_f64 v[38:39], -v[26:27], v[36:37], 1.0
	v_fma_f64 v[36:37], v[36:37], v[38:39], v[36:37]
	s_delay_alu instid0(VALU_DEP_1) | instskip(NEXT) | instid1(VALU_DEP_1)
	v_fma_f64 v[38:39], -v[26:27], v[36:37], 1.0
	v_fma_f64 v[36:37], v[36:37], v[38:39], v[36:37]
	v_div_scale_f64 v[38:39], vcc_lo, 1.0, v[22:23], 1.0
	s_delay_alu instid0(VALU_DEP_1) | instskip(NEXT) | instid1(VALU_DEP_1)
	v_mul_f64 v[40:41], v[38:39], v[36:37]
	v_fma_f64 v[26:27], -v[26:27], v[40:41], v[38:39]
	s_delay_alu instid0(VALU_DEP_1) | instskip(NEXT) | instid1(VALU_DEP_1)
	v_div_fmas_f64 v[26:27], v[26:27], v[36:37], v[40:41]
	v_div_fixup_f64 v[22:23], v[26:27], v[22:23], 1.0
	s_delay_alu instid0(VALU_DEP_1)
	v_mul_f64 v[24:25], v[24:25], v[22:23]
.LBB22_62:                              ;   in Loop: Header=BB22_37 Depth=3
	s_or_b32 exec_lo, exec_lo, s31
	s_delay_alu instid0(VALU_DEP_1) | instskip(NEXT) | instid1(VALU_DEP_1)
	v_mul_f64 v[20:21], v[20:21], v[22:23]
	v_fma_f64 v[18:19], v[18:19], v[24:25], -v[20:21]
                                        ; implicit-def: $vgpr20_vgpr21
.LBB22_63:                              ;   in Loop: Header=BB22_37 Depth=3
	s_and_not1_saveexec_b32 s30, s30
; %bb.64:                               ;   in Loop: Header=BB22_37 Depth=3
	v_xor_b32_e32 v21, 0x80000000, v21
	v_mov_b32_e32 v22, 0
	v_dual_mov_b32 v23, 0x3ff00000 :: v_dual_mov_b32 v24, 0
	v_dual_mov_b32 v25, 0 :: v_dual_mov_b32 v18, v20
	s_delay_alu instid0(VALU_DEP_4)
	v_mov_b32_e32 v19, v21
; %bb.65:                               ;   in Loop: Header=BB22_37 Depth=3
	s_or_b32 exec_lo, exec_lo, s30
.LBB22_66:                              ;   in Loop: Header=BB22_37 Depth=3
	s_delay_alu instid0(SALU_CYCLE_1)
	s_or_b32 exec_lo, exec_lo, s3
	v_mov_b32_e32 v4, v3
	s_and_not1_b32 vcc_lo, exec_lo, s52
	s_waitcnt vmcnt(0)
	s_clause 0x1
	global_store_b64 v[16:17], v[18:19], off
	global_store_b64 v[14:15], v[3:4], off
	s_cbranch_vccnz .LBB22_36
; %bb.67:                               ;   in Loop: Header=BB22_37 Depth=3
	v_mul_lo_u32 v12, v13, s27
	v_mul_lo_u32 v14, v11, s27
	s_mov_b32 s3, s25
	s_delay_alu instid0(VALU_DEP_2) | instskip(NEXT) | instid1(VALU_DEP_2)
	v_ashrrev_i32_e32 v13, 31, v12
	v_ashrrev_i32_e32 v15, 31, v14
	s_delay_alu instid0(VALU_DEP_2) | instskip(NEXT) | instid1(VALU_DEP_2)
	v_lshlrev_b64 v[11:12], 3, v[12:13]
	v_lshlrev_b64 v[13:14], 3, v[14:15]
	s_delay_alu instid0(VALU_DEP_2) | instskip(NEXT) | instid1(VALU_DEP_3)
	v_add_co_u32 v11, vcc_lo, s4, v11
	v_add_co_ci_u32_e32 v12, vcc_lo, s5, v12, vcc_lo
	s_delay_alu instid0(VALU_DEP_3) | instskip(NEXT) | instid1(VALU_DEP_4)
	v_add_co_u32 v13, vcc_lo, s4, v13
	v_add_co_ci_u32_e32 v14, vcc_lo, s5, v14, vcc_lo
	.p2align	6
.LBB22_68:                              ;   Parent Loop BB22_6 Depth=1
                                        ;     Parent Loop BB22_34 Depth=2
                                        ;       Parent Loop BB22_37 Depth=3
                                        ; =>      This Inner Loop Header: Depth=4
	flat_load_b64 v[15:16], v[11:12]
	flat_load_b64 v[17:18], v[13:14]
	s_add_i32 s3, s3, -1
	s_delay_alu instid0(SALU_CYCLE_1) | instskip(SKIP_4) | instid1(VALU_DEP_2)
	s_cmp_lg_u32 s3, 0
	s_waitcnt vmcnt(1) lgkmcnt(1)
	v_mul_f64 v[19:20], v[22:23], v[15:16]
	v_mul_f64 v[15:16], v[24:25], v[15:16]
	s_waitcnt vmcnt(0) lgkmcnt(0)
	v_fma_f64 v[19:20], v[24:25], v[17:18], -v[19:20]
	s_delay_alu instid0(VALU_DEP_2)
	v_fma_f64 v[15:16], v[22:23], v[17:18], v[15:16]
	flat_store_b64 v[13:14], v[19:20]
	flat_store_b64 v[11:12], v[15:16]
	v_add_co_u32 v11, vcc_lo, v11, 8
	v_add_co_ci_u32_e32 v12, vcc_lo, 0, v12, vcc_lo
	v_add_co_u32 v13, vcc_lo, v13, 8
	v_add_co_ci_u32_e32 v14, vcc_lo, 0, v14, vcc_lo
	s_cbranch_scc1 .LBB22_68
	s_branch .LBB22_36
.LBB22_69:                              ;   in Loop: Header=BB22_6 Depth=1
	s_cmp_lt_i32 s15, 1
	s_cbranch_scc1 .LBB22_5
; %bb.70:                               ;   in Loop: Header=BB22_6 Depth=1
	v_cmp_gt_f64_e64 s2, 0, v[7:8]
	s_mul_i32 s16, s10, s25
	s_mov_b32 s63, 0
	s_ashr_i32 s17, s16, 31
	s_mov_b32 s22, 0
	s_lshl_b64 s[16:17], s[16:17], 3
	s_delay_alu instid0(SALU_CYCLE_1) | instskip(SKIP_2) | instid1(SALU_CYCLE_1)
	s_add_u32 s3, s42, s16
	s_addc_u32 s60, s43, s17
	s_ashr_i32 s11, s10, 31
	s_lshl_b64 s[18:19], s[10:11], 3
	s_delay_alu instid0(SALU_CYCLE_1) | instskip(SKIP_4) | instid1(SALU_CYCLE_1)
	s_add_u32 s16, s36, s18
	s_addc_u32 s17, s37, s19
	s_add_u32 s18, s40, s18
	s_addc_u32 s19, s41, s19
	s_lshl_b64 s[20:21], s[10:11], 2
	s_add_u32 s10, s55, s20
	s_addc_u32 s11, s56, s21
	s_add_u32 s61, s57, s20
	s_addc_u32 s62, s58, s21
	s_mov_b64 s[20:21], s[18:19]
	s_set_inst_prefetch_distance 0x1
	s_branch .LBB22_73
	.p2align	6
.LBB22_71:                              ;   in Loop: Header=BB22_73 Depth=2
	s_or_b32 exec_lo, exec_lo, s64
	s_add_i32 s22, s22, 1
.LBB22_72:                              ;   in Loop: Header=BB22_73 Depth=2
	s_add_i32 s63, s63, 1
	s_add_u32 s10, s10, 4
	s_addc_u32 s11, s11, 0
	s_add_u32 s16, s16, 8
	s_addc_u32 s17, s17, 0
	;; [unrolled: 2-line block ×3, first 2 shown]
	s_cmp_lg_u32 s15, s63
	s_cbranch_scc0 .LBB22_5
.LBB22_73:                              ;   Parent Loop BB22_6 Depth=1
                                        ; =>  This Inner Loop Header: Depth=2
	global_load_b32 v4, v3, s[10:11]
	s_waitcnt vmcnt(0)
	v_cmp_ne_u32_e32 vcc_lo, 1, v4
	s_cbranch_vccnz .LBB22_72
; %bb.74:                               ;   in Loop: Header=BB22_73 Depth=2
	s_and_saveexec_b32 s64, s0
	s_cbranch_execz .LBB22_71
; %bb.75:                               ;   in Loop: Header=BB22_73 Depth=2
	global_load_b64 v[7:8], v3, s[16:17]
	s_ashr_i32 s23, s22, 31
	v_mov_b32_e32 v9, s63
	s_lshl_b64 s[30:31], s[22:23], 2
	s_delay_alu instid0(SALU_CYCLE_1) | instskip(SKIP_2) | instid1(SALU_CYCLE_1)
	s_add_u32 s66, s61, s30
	s_addc_u32 s67, s62, s31
	s_lshl_b64 s[30:31], s[22:23], 3
	s_add_u32 s68, s3, s30
	s_addc_u32 s69, s60, s31
	s_cmp_eq_u32 s63, s22
	s_waitcnt vmcnt(0)
	v_xor_b32_e32 v4, 0x80000000, v8
	v_cndmask_b32_e64 v7, v7, v7, s2
	s_delay_alu instid0(VALU_DEP_2)
	v_cndmask_b32_e64 v8, v8, v4, s2
	s_clause 0x1
	global_store_b32 v3, v9, s[66:67]
	global_store_b64 v3, v[7:8], s[68:69]
	s_cbranch_scc1 .LBB22_71
; %bb.76:                               ;   in Loop: Header=BB22_73 Depth=2
	global_load_b64 v[7:8], v3, s[20:21]
	s_add_u32 s30, s18, s30
	s_addc_u32 s31, s19, s31
	s_waitcnt vmcnt(0)
	global_store_b64 v3, v[7:8], s[30:31]
	s_branch .LBB22_71
.LBB22_77:
	s_nop 0
	s_sendmsg sendmsg(MSG_DEALLOC_VGPRS)
	s_endpgm
.LBB22_78:
                                        ; implicit-def: $sgpr4_sgpr5
                                        ; implicit-def: $sgpr36_sgpr37
	s_branch .LBB22_2
	.section	.rodata,"a",@progbits
	.p2align	6, 0x0
	.amdhsa_kernel _ZN9rocsolver6v33100L26stedcx_mergePrepare_kernelIdEEviiPT_lS3_lS3_iilS3_S3_PiS2_
		.amdhsa_group_segment_fixed_size 0
		.amdhsa_private_segment_fixed_size 0
		.amdhsa_kernarg_size 352
		.amdhsa_user_sgpr_count 13
		.amdhsa_user_sgpr_dispatch_ptr 0
		.amdhsa_user_sgpr_queue_ptr 0
		.amdhsa_user_sgpr_kernarg_segment_ptr 1
		.amdhsa_user_sgpr_dispatch_id 0
		.amdhsa_user_sgpr_private_segment_size 0
		.amdhsa_wavefront_size32 1
		.amdhsa_uses_dynamic_stack 0
		.amdhsa_enable_private_segment 0
		.amdhsa_system_sgpr_workgroup_id_x 1
		.amdhsa_system_sgpr_workgroup_id_y 1
		.amdhsa_system_sgpr_workgroup_id_z 1
		.amdhsa_system_sgpr_workgroup_info 0
		.amdhsa_system_vgpr_workitem_id 0
		.amdhsa_next_free_vgpr 42
		.amdhsa_next_free_sgpr 70
		.amdhsa_reserve_vcc 1
		.amdhsa_float_round_mode_32 0
		.amdhsa_float_round_mode_16_64 0
		.amdhsa_float_denorm_mode_32 3
		.amdhsa_float_denorm_mode_16_64 3
		.amdhsa_dx10_clamp 1
		.amdhsa_ieee_mode 1
		.amdhsa_fp16_overflow 0
		.amdhsa_workgroup_processor_mode 1
		.amdhsa_memory_ordered 1
		.amdhsa_forward_progress 0
		.amdhsa_shared_vgpr_count 0
		.amdhsa_exception_fp_ieee_invalid_op 0
		.amdhsa_exception_fp_denorm_src 0
		.amdhsa_exception_fp_ieee_div_zero 0
		.amdhsa_exception_fp_ieee_overflow 0
		.amdhsa_exception_fp_ieee_underflow 0
		.amdhsa_exception_fp_ieee_inexact 0
		.amdhsa_exception_int_div_zero 0
	.end_amdhsa_kernel
	.section	.text._ZN9rocsolver6v33100L26stedcx_mergePrepare_kernelIdEEviiPT_lS3_lS3_iilS3_S3_PiS2_,"axG",@progbits,_ZN9rocsolver6v33100L26stedcx_mergePrepare_kernelIdEEviiPT_lS3_lS3_iilS3_S3_PiS2_,comdat
.Lfunc_end22:
	.size	_ZN9rocsolver6v33100L26stedcx_mergePrepare_kernelIdEEviiPT_lS3_lS3_iilS3_S3_PiS2_, .Lfunc_end22-_ZN9rocsolver6v33100L26stedcx_mergePrepare_kernelIdEEviiPT_lS3_lS3_iilS3_S3_PiS2_
                                        ; -- End function
	.section	.AMDGPU.csdata,"",@progbits
; Kernel info:
; codeLenInByte = 4580
; NumSgprs: 72
; NumVgprs: 42
; ScratchSize: 0
; MemoryBound: 0
; FloatMode: 240
; IeeeMode: 1
; LDSByteSize: 0 bytes/workgroup (compile time only)
; SGPRBlocks: 8
; VGPRBlocks: 5
; NumSGPRsForWavesPerEU: 72
; NumVGPRsForWavesPerEU: 42
; Occupancy: 16
; WaveLimiterHint : 1
; COMPUTE_PGM_RSRC2:SCRATCH_EN: 0
; COMPUTE_PGM_RSRC2:USER_SGPR: 13
; COMPUTE_PGM_RSRC2:TRAP_HANDLER: 0
; COMPUTE_PGM_RSRC2:TGID_X_EN: 1
; COMPUTE_PGM_RSRC2:TGID_Y_EN: 1
; COMPUTE_PGM_RSRC2:TGID_Z_EN: 1
; COMPUTE_PGM_RSRC2:TIDIG_COMP_CNT: 0
	.section	.text._ZN9rocsolver6v33100L25stedcx_mergeValues_kernelIdEEviiPT_lS3_lS3_S3_PiS2_S2_S2_,"axG",@progbits,_ZN9rocsolver6v33100L25stedcx_mergeValues_kernelIdEEviiPT_lS3_lS3_S3_PiS2_S2_S2_,comdat
	.globl	_ZN9rocsolver6v33100L25stedcx_mergeValues_kernelIdEEviiPT_lS3_lS3_S3_PiS2_S2_S2_ ; -- Begin function _ZN9rocsolver6v33100L25stedcx_mergeValues_kernelIdEEviiPT_lS3_lS3_S3_PiS2_S2_S2_
	.p2align	8
	.type	_ZN9rocsolver6v33100L25stedcx_mergeValues_kernelIdEEviiPT_lS3_lS3_S3_PiS2_S2_S2_,@function
_ZN9rocsolver6v33100L25stedcx_mergeValues_kernelIdEEviiPT_lS3_lS3_S3_PiS2_S2_S2_: ; @_ZN9rocsolver6v33100L25stedcx_mergeValues_kernelIdEEviiPT_lS3_lS3_S3_PiS2_S2_S2_
; %bb.0:
	s_clause 0x1
	s_load_b64 s[10:11], s[0:1], 0x0
	s_load_b512 s[16:31], s[0:1], 0x8
	s_waitcnt lgkmcnt(0)
	s_mul_i32 s2, s11, 5
	s_mov_b32 s34, s11
	s_add_i32 s2, s2, 2
	s_delay_alu instid0(SALU_CYCLE_1) | instskip(NEXT) | instid1(SALU_CYCLE_1)
	s_mul_i32 s2, s2, s15
	s_ashr_i32 s3, s2, 31
	s_delay_alu instid0(SALU_CYCLE_1) | instskip(NEXT) | instid1(SALU_CYCLE_1)
	s_lshl_b64 s[2:3], s[2:3], 2
	s_add_u32 s12, s28, s2
	s_addc_u32 s33, s29, s3
	s_ashr_i32 s35, s11, 31
	s_delay_alu instid0(SALU_CYCLE_1) | instskip(NEXT) | instid1(SALU_CYCLE_1)
	s_lshl_b64 s[4:5], s[34:35], 2
	s_add_u32 s36, s12, s4
	s_addc_u32 s37, s33, s5
	s_load_b32 s48, s[36:37], 0x4
	s_waitcnt lgkmcnt(0)
	s_cmp_ge_i32 s14, s48
	s_cbranch_scc1 .LBB23_249
; %bb.1:
	s_mul_i32 s6, s15, s19
	s_mul_hi_u32 s7, s15, s18
	s_ashr_i32 s8, s15, 31
	s_add_i32 s6, s7, s6
	s_mul_i32 s7, s8, s18
	s_mul_hi_u32 s9, s15, s22
	s_add_i32 s7, s6, s7
	s_mul_i32 s6, s15, s18
	s_mul_i32 s8, s8, s22
	s_lshl_b64 s[6:7], s[6:7], 3
	v_dual_mov_b32 v10, 0 :: v_dual_lshlrev_b32 v61, 1, v0
	s_add_u32 s49, s16, s6
	s_mul_i32 s6, s15, s23
	s_addc_u32 s50, s17, s7
	s_add_i32 s6, s9, s6
	v_cvt_f32_u32_e32 v62, v0
	s_add_i32 s7, s6, s8
	s_mul_i32 s6, s15, s22
	v_add_nc_u32_e32 v63, s34, v0
	s_lshl_b64 s[6:7], s[6:7], 3
	v_lshlrev_b32_e32 v64, 3, v0
	s_add_u32 s51, s20, s6
	s_addc_u32 s52, s21, s7
	s_add_u32 s53, s36, s4
	s_addc_u32 s54, s37, s5
	;; [unrolled: 2-line block ×4, first 2 shown]
	s_lshl_b32 s8, s15, 1
	s_delay_alu instid0(SALU_CYCLE_1) | instskip(NEXT) | instid1(SALU_CYCLE_1)
	s_mul_i32 s6, s8, s11
	s_ashr_i32 s7, s6, 31
	s_delay_alu instid0(SALU_CYCLE_1) | instskip(NEXT) | instid1(SALU_CYCLE_1)
	s_lshl_b64 s[6:7], s[6:7], 3
	s_add_u32 s59, s24, s6
	s_mul_i32 s6, s11, s11
	s_addc_u32 s60, s25, s7
	s_lshl_b64 s[16:17], s[34:35], 3
	s_mul_i32 s8, s8, s6
	s_add_u32 s11, s59, s16
	s_addc_u32 s61, s60, s17
	s_ashr_i32 s9, s8, 31
	s_mov_b32 s7, 0
	s_lshl_b64 s[8:9], s[8:9], 3
	s_lshl_b64 s[6:7], s[6:7], 3
	s_delay_alu instid0(SALU_CYCLE_1)
	s_add_u32 s6, s8, s6
	s_addc_u32 s7, s9, s7
	s_add_u32 s62, s26, s6
	s_addc_u32 s63, s27, s7
	s_not_b32 s64, s10
	s_lshl_b32 s6, 1, s10
	s_lshl_b32 s7, 2, s10
	s_add_u32 s18, s0, 0x58
	s_addc_u32 s19, s1, 0
	s_cmp_gt_i32 s6, 1
	s_mul_i32 s20, s7, s13
	s_cselect_b32 s65, -1, 0
	s_ashr_i32 s21, s20, 31
	s_cmp_gt_i32 s7, 1
	s_cselect_b32 s66, -1, 0
	s_add_u32 s0, s4, s2
	s_addc_u32 s1, s5, s3
	s_add_u32 s0, s0, s28
	s_addc_u32 s1, s1, s29
	s_add_u32 s67, s0, 12
	s_addc_u32 s68, s1, 0
	s_lshl_b64 s[22:23], s[20:21], 2
	s_bfm_b32 s21, s10, 0
	s_add_u32 s69, s67, s22
	s_addc_u32 s70, s68, s23
	s_lshl_b64 s[0:1], s[34:35], 4
	s_add_i32 s35, s7, -1
	s_add_u32 s0, s0, s2
	s_addc_u32 s1, s1, s3
	s_add_u32 s0, s0, s28
	s_addc_u32 s1, s1, s29
	s_add_u32 s71, s0, 8
	s_addc_u32 s72, s1, 0
	s_add_u32 s73, s59, 8
	s_addc_u32 s74, s60, 0
	s_branch .LBB23_4
.LBB23_2:                               ;   in Loop: Header=BB23_4 Depth=1
	s_or_b32 exec_lo, exec_lo, s8
.LBB23_3:                               ;   in Loop: Header=BB23_4 Depth=1
	s_add_i32 s14, s14, 8
	s_delay_alu instid0(SALU_CYCLE_1)
	s_cmp_ge_i32 s14, s48
	s_cbranch_scc1 .LBB23_249
.LBB23_4:                               ; =>This Loop Header: Depth=1
                                        ;     Child Loop BB23_12 Depth 2
                                        ;     Child Loop BB23_15 Depth 2
	;; [unrolled: 1-line block ×4, first 2 shown]
                                        ;       Child Loop BB23_25 Depth 3
                                        ;     Child Loop BB23_30 Depth 2
                                        ;       Child Loop BB23_32 Depth 3
                                        ;     Child Loop BB23_36 Depth 2
                                        ;     Child Loop BB23_40 Depth 2
                                        ;       Child Loop BB23_46 Depth 3
                                        ;       Child Loop BB23_53 Depth 3
	;; [unrolled: 1-line block ×10, first 2 shown]
                                        ;         Child Loop BB23_161 Depth 4
                                        ;         Child Loop BB23_165 Depth 4
                                        ;       Child Loop BB23_171 Depth 3
                                        ;       Child Loop BB23_187 Depth 3
	;; [unrolled: 1-line block ×5, first 2 shown]
                                        ;         Child Loop BB23_231 Depth 4
                                        ;     Child Loop BB23_242 Depth 2
                                        ;       Child Loop BB23_246 Depth 3
	s_ashr_i32 s15, s14, 31
	s_delay_alu instid0(SALU_CYCLE_1)
	s_lshl_b64 s[0:1], s[14:15], 2
	s_waitcnt_vscnt null, 0x0
	s_barrier
	s_add_u32 s0, s12, s0
	s_addc_u32 s1, s33, s1
	buffer_gl0_inv
	global_load_b64 v[1:2], v10, s[0:1]
	s_mov_b32 s2, 0
	s_waitcnt vmcnt(0)
	v_readfirstlane_b32 s0, v1
	v_readfirstlane_b32 s1, v2
	s_delay_alu instid0(VALU_DEP_1) | instskip(NEXT) | instid1(SALU_CYCLE_1)
	s_sub_i32 s1, s1, s0
	s_cmp_lt_i32 s1, 3
	s_cbranch_scc1 .LBB23_9
; %bb.5:                                ;   in Loop: Header=BB23_4 Depth=1
	s_cmp_lt_u32 s1, 5
	s_mov_b32 s2, 1
	s_cbranch_scc1 .LBB23_9
; %bb.6:                                ;   in Loop: Header=BB23_4 Depth=1
	s_cmp_lt_u32 s1, 33
	s_mov_b32 s2, 2
	s_cbranch_scc1 .LBB23_9
; %bb.7:                                ;   in Loop: Header=BB23_4 Depth=1
	s_cmpk_lt_u32 s1, 0xe9
	s_mov_b32 s2, 4
	s_cbranch_scc1 .LBB23_9
; %bb.8:                                ;   in Loop: Header=BB23_4 Depth=1
	s_cmpk_lt_u32 s1, 0x128
	s_cselect_b32 s2, 5, 7
	s_cmpk_lt_u32 s1, 0x79b
	s_cselect_b32 s2, s2, 8
.LBB23_9:                               ;   in Loop: Header=BB23_4 Depth=1
	s_delay_alu instid0(SALU_CYCLE_1) | instskip(NEXT) | instid1(SALU_CYCLE_1)
	s_add_i32 s1, s2, s64
	s_lshl_b32 s2, 1, s1
	s_cmp_gt_i32 s1, -1
	s_cselect_b32 s1, s2, 0
	s_delay_alu instid0(SALU_CYCLE_1)
	s_cmp_ge_i32 s13, s1
	s_cbranch_scc1 .LBB23_3
; %bb.10:                               ;   in Loop: Header=BB23_4 Depth=1
	s_load_b32 s6, s[18:19], 0xc
	s_ashr_i32 s1, s0, 31
	s_delay_alu instid0(SALU_CYCLE_1) | instskip(NEXT) | instid1(SALU_CYCLE_1)
	s_lshl_b64 s[0:1], s[0:1], 2
	s_add_u32 s5, s36, s0
	s_addc_u32 s4, s37, s1
	s_add_u32 s2, s53, s0
	s_addc_u32 s3, s54, s1
	s_waitcnt lgkmcnt(0)
	s_bfe_u32 s7, s6, 0xf0001
	s_delay_alu instid0(SALU_CYCLE_1) | instskip(NEXT) | instid1(VALU_DEP_1)
	v_cvt_f32_u32_e32 v1, s7
	v_rcp_iflag_f32_e32 v2, v1
	s_waitcnt_depctr 0xfff
	v_mul_f32_e32 v2, v62, v2
	s_delay_alu instid0(VALU_DEP_1) | instskip(NEXT) | instid1(VALU_DEP_1)
	v_trunc_f32_e32 v2, v2
	v_fma_f32 v3, -v2, v1, v62
	v_cvt_u32_f32_e32 v2, v2
	s_delay_alu instid0(VALU_DEP_2) | instskip(NEXT) | instid1(VALU_DEP_2)
	v_cmp_ge_f32_e64 vcc_lo, |v3|, v1
	v_add_co_ci_u32_e32 v1, vcc_lo, 0, v2, vcc_lo
	s_delay_alu instid0(VALU_DEP_1) | instskip(NEXT) | instid1(VALU_DEP_1)
	v_and_b32_e32 v1, 0x7fff, v1
	v_lshl_add_u32 v1, v1, s10, s20
	s_delay_alu instid0(VALU_DEP_1) | instskip(NEXT) | instid1(VALU_DEP_1)
	v_ashrrev_i32_e32 v2, 31, v1
	v_lshlrev_b64 v[1:2], 2, v[1:2]
	s_delay_alu instid0(VALU_DEP_1) | instskip(NEXT) | instid1(VALU_DEP_2)
	v_add_co_u32 v3, vcc_lo, s2, v1
	v_add_co_ci_u32_e32 v4, vcc_lo, s3, v2, vcc_lo
	v_add_co_u32 v5, vcc_lo, s5, v1
	v_add_co_ci_u32_e32 v6, vcc_lo, s4, v2, vcc_lo
	s_and_not1_b32 vcc_lo, exec_lo, s65
	s_clause 0x1
	global_load_b32 v3, v[3:4], off offset:8
	global_load_b32 v4, v[5:6], off offset:8
	s_cbranch_vccnz .LBB23_13
; %bb.11:                               ;   in Loop: Header=BB23_4 Depth=1
	s_add_u32 s8, s67, s0
	s_addc_u32 s9, s68, s1
	v_add_co_u32 v1, vcc_lo, s8, v1
	v_add_co_ci_u32_e32 v2, vcc_lo, s9, v2, vcc_lo
	s_mov_b32 s8, s21
.LBB23_12:                              ;   Parent Loop BB23_4 Depth=1
                                        ; =>  This Inner Loop Header: Depth=2
	global_load_b32 v5, v[1:2], off
	v_add_co_u32 v1, vcc_lo, v1, 4
	v_add_co_ci_u32_e32 v2, vcc_lo, 0, v2, vcc_lo
	s_add_i32 s8, s8, -1
	s_delay_alu instid0(SALU_CYCLE_1)
	s_cmp_eq_u32 s8, 0
	s_waitcnt vmcnt(0)
	v_add_nc_u32_e32 v4, v5, v4
	s_cbranch_scc0 .LBB23_12
.LBB23_13:                              ;   in Loop: Header=BB23_4 Depth=1
	s_waitcnt vmcnt(0)
	s_delay_alu instid0(VALU_DEP_1)
	v_add3_u32 v1, v3, v4, -1
	v_cmp_gt_u32_e32 vcc_lo, s7, v0
	s_and_b32 s15, s6, 0xffff
	s_add_u32 s6, s5, s22
	s_addc_u32 s7, s4, s23
	v_cndmask_b32_e32 v1, v3, v1, vcc_lo
	v_cndmask_b32_e64 v3, -8, 0, vcc_lo
	v_cndmask_b32_e64 v4, -1, 0, vcc_lo
	s_delay_alu instid0(VALU_DEP_3) | instskip(NEXT) | instid1(VALU_DEP_3)
	v_ashrrev_i32_e32 v2, 31, v1
	v_add_co_u32 v3, vcc_lo, s51, v3
	s_delay_alu instid0(VALU_DEP_3) | instskip(NEXT) | instid1(VALU_DEP_3)
	v_add_co_ci_u32_e32 v4, vcc_lo, s52, v4, vcc_lo
	v_lshlrev_b64 v[1:2], 3, v[1:2]
	s_delay_alu instid0(VALU_DEP_1) | instskip(NEXT) | instid1(VALU_DEP_2)
	v_add_co_u32 v1, vcc_lo, v3, v1
	v_add_co_ci_u32_e32 v2, vcc_lo, v4, v2, vcc_lo
	s_and_not1_b32 vcc_lo, exec_lo, s66
	global_load_b32 v3, v10, s[6:7] offset:8
	global_load_b64 v[5:6], v[1:2], off
	s_waitcnt vmcnt(1)
	v_readfirstlane_b32 s75, v3
	s_cbranch_vccnz .LBB23_16
; %bb.14:                               ;   in Loop: Header=BB23_4 Depth=1
	s_add_u32 s0, s69, s0
	s_addc_u32 s1, s70, s1
	s_mov_b32 s4, s35
.LBB23_15:                              ;   Parent Loop BB23_4 Depth=1
                                        ; =>  This Inner Loop Header: Depth=2
	global_load_b32 v1, v10, s[0:1]
	s_waitcnt vmcnt(0)
	v_readfirstlane_b32 s5, v1
	s_delay_alu instid0(VALU_DEP_1) | instskip(SKIP_3) | instid1(SALU_CYCLE_1)
	s_add_i32 s75, s5, s75
	s_add_u32 s0, s0, 4
	s_addc_u32 s1, s1, 0
	s_add_i32 s4, s4, -1
	s_cmp_eq_u32 s4, 0
	s_cbranch_scc0 .LBB23_15
.LBB23_16:                              ;   in Loop: Header=BB23_4 Depth=1
	s_add_u32 s0, s2, s22
	s_addc_u32 s1, s3, s23
	s_mov_b32 s24, 0
	global_load_b32 v1, v10, s[0:1] offset:8
	s_waitcnt vmcnt(0)
	v_readfirstlane_b32 s4, v1
	s_delay_alu instid0(VALU_DEP_1) | instskip(NEXT) | instid1(SALU_CYCLE_1)
	s_ashr_i32 s5, s4, 31
	s_lshl_b64 s[26:27], s[4:5], 2
	s_delay_alu instid0(SALU_CYCLE_1)
	s_add_u32 s77, s55, s26
	s_addc_u32 s78, s56, s27
	s_cmp_gt_i32 s75, 0
	s_cselect_b32 s76, -1, 0
	s_cmp_lt_i32 s75, 1
	s_cbranch_scc1 .LBB23_19
; %bb.17:                               ;   in Loop: Header=BB23_4 Depth=1
	s_add_u32 s0, s77, 8
	s_addc_u32 s1, s78, 0
	s_mov_b32 s2, s75
.LBB23_18:                              ;   Parent Loop BB23_4 Depth=1
                                        ; =>  This Inner Loop Header: Depth=2
	global_load_b32 v1, v10, s[0:1]
	s_waitcnt vmcnt(0)
	v_readfirstlane_b32 s3, v1
	s_delay_alu instid0(VALU_DEP_1) | instskip(SKIP_1) | instid1(SALU_CYCLE_1)
	s_cmp_eq_u32 s3, 1
	s_cselect_b32 s3, -1, 0
	s_cmp_lg_u32 s3, 0
	s_addc_u32 s24, s24, 0
	s_add_i32 s2, s2, -1
	s_add_u32 s0, s0, 4
	s_addc_u32 s1, s1, 0
	s_cmp_eq_u32 s2, 0
	s_cbranch_scc0 .LBB23_18
.LBB23_19:                              ;   in Loop: Header=BB23_4 Depth=1
	s_mul_i32 s2, s4, s34
	s_delay_alu instid0(SALU_CYCLE_1) | instskip(SKIP_2) | instid1(SALU_CYCLE_1)
	s_ashr_i32 s3, s2, 31
	s_cmp_lt_i32 s24, 1
	s_cselect_b32 s81, -1, 0
	s_and_b32 vcc_lo, exec_lo, s81
	s_cbranch_vccnz .LBB23_27
; %bb.20:                               ;   in Loop: Header=BB23_4 Depth=1
	s_add_i32 s1, s24, -1
	s_lshl_b32 s8, s15, 1
	s_add_u32 s9, s71, s26
	s_addc_u32 s25, s72, s27
	s_lshl_b64 s[6:7], s[4:5], 3
	s_lshl_b32 s28, s15, 3
	s_add_u32 s38, s73, s6
	s_addc_u32 s39, s74, s7
	s_lshl_b64 s[6:7], s[2:3], 3
	s_lshl_b32 s40, s15, 4
	s_add_u32 s41, s62, s6
	s_mov_b32 s29, 0
	s_addc_u32 s42, s63, s7
	s_mov_b32 s43, 0
	s_branch .LBB23_22
.LBB23_21:                              ;   in Loop: Header=BB23_22 Depth=2
	s_set_inst_prefetch_distance 0x2
	s_or_b32 exec_lo, exec_lo, s44
	s_add_i32 s43, s43, 1
	s_not_b32 s29, s29
	s_cmp_eq_u32 s43, s24
	s_waitcnt_vscnt null, 0x0
	s_barrier
	buffer_gl0_inv
	s_cbranch_scc1 .LBB23_27
.LBB23_22:                              ;   Parent Loop BB23_4 Depth=1
                                        ; =>  This Loop Header: Depth=2
                                        ;       Child Loop BB23_25 Depth 3
	v_and_or_b32 v9, s43, 1, v61
	s_mov_b32 s44, exec_lo
	s_delay_alu instid0(VALU_DEP_1)
	v_cmpx_gt_i32_e64 s1, v9
	s_cbranch_execz .LBB23_21
; %bb.23:                               ;   in Loop: Header=BB23_22 Depth=2
	v_cndmask_b32_e64 v1, 0, 1, s29
	s_mov_b64 s[6:7], 0
	s_mov_b32 s45, 0
	s_delay_alu instid0(VALU_DEP_1) | instskip(NEXT) | instid1(VALU_DEP_1)
	v_add_nc_u32_e32 v1, v61, v1
	v_lshlrev_b32_e32 v2, 2, v1
	v_lshlrev_b32_e32 v1, 3, v1
	s_delay_alu instid0(VALU_DEP_2) | instskip(NEXT) | instid1(VALU_DEP_1)
	v_add_co_u32 v7, s0, s9, v2
	v_add_co_ci_u32_e64 v8, null, s25, 0, s0
	s_delay_alu instid0(VALU_DEP_3) | instskip(NEXT) | instid1(VALU_DEP_1)
	v_add_co_u32 v13, s0, s38, v1
	v_add_co_ci_u32_e64 v14, null, s39, 0, s0
	v_add_co_u32 v15, s0, s41, v1
	s_delay_alu instid0(VALU_DEP_1)
	v_add_co_ci_u32_e64 v16, null, s42, 0, s0
	s_set_inst_prefetch_distance 0x1
	s_branch .LBB23_25
	.p2align	6
.LBB23_24:                              ;   in Loop: Header=BB23_25 Depth=3
	s_or_b32 exec_lo, exec_lo, s0
	v_add_nc_u32_e32 v9, s8, v9
	v_add_co_u32 v7, s0, v7, s28
	s_delay_alu instid0(VALU_DEP_1) | instskip(NEXT) | instid1(VALU_DEP_3)
	v_add_co_ci_u32_e64 v8, s0, 0, v8, s0
	v_cmp_le_i32_e32 vcc_lo, s1, v9
	s_add_u32 s6, s6, s40
	s_addc_u32 s7, s7, 0
	s_or_b32 s45, vcc_lo, s45
	s_delay_alu instid0(SALU_CYCLE_1)
	s_and_not1_b32 exec_lo, exec_lo, s45
	s_cbranch_execz .LBB23_21
.LBB23_25:                              ;   Parent Loop BB23_4 Depth=1
                                        ;     Parent Loop BB23_22 Depth=2
                                        ; =>    This Inner Loop Header: Depth=3
	s_delay_alu instid0(VALU_DEP_2) | instskip(NEXT) | instid1(VALU_DEP_2)
	v_add_co_u32 v11, vcc_lo, v15, s6
	v_add_co_ci_u32_e32 v12, vcc_lo, s7, v16, vcc_lo
	s_mov_b32 s0, exec_lo
	global_load_b128 v[1:4], v[11:12], off
	s_waitcnt vmcnt(0)
	v_cmpx_gt_f64_e32 v[1:2], v[3:4]
	s_cbranch_execz .LBB23_24
; %bb.26:                               ;   in Loop: Header=BB23_25 Depth=3
	v_dual_mov_b32 v17, v3 :: v_dual_mov_b32 v18, v4
	v_dual_mov_b32 v19, v1 :: v_dual_mov_b32 v20, v2
	v_add_co_u32 v21, vcc_lo, v13, s6
	v_add_co_ci_u32_e32 v22, vcc_lo, s7, v14, vcc_lo
	global_store_b128 v[11:12], v[17:20], off
	global_load_b64 v[11:12], v[7:8], off
	global_load_b128 v[1:4], v[21:22], off offset:-8
	s_waitcnt vmcnt(0)
	v_dual_mov_b32 v23, v12 :: v_dual_mov_b32 v20, v2
	v_dual_mov_b32 v17, v3 :: v_dual_mov_b32 v18, v4
	;; [unrolled: 1-line block ×3, first 2 shown]
	global_store_b128 v[21:22], v[17:20], off offset:-8
	global_store_b64 v[7:8], v[23:24], off
	s_branch .LBB23_24
.LBB23_27:                              ;   in Loop: Header=BB23_4 Depth=1
	s_lshl_b64 s[6:7], s[2:3], 3
	v_cmp_gt_i32_e64 s0, s24, v0
	s_add_u32 s79, s62, s6
	s_addc_u32 s80, s63, s7
	s_delay_alu instid0(VALU_DEP_1)
	s_and_saveexec_b32 s2, s0
	s_cbranch_execz .LBB23_34
; %bb.28:                               ;   in Loop: Header=BB23_4 Depth=1
	s_mul_i32 s3, s75, s34
	v_mov_b32_e32 v1, v63
	s_cmp_gt_i32 s3, s34
	v_mov_b32_e32 v9, v0
	s_cselect_b32 s8, -1, 0
	s_add_u32 s9, s62, s6
	s_addc_u32 s25, s63, s7
	s_mov_b32 s28, 0
	s_set_inst_prefetch_distance 0x1
	s_branch .LBB23_30
	.p2align	6
.LBB23_29:                              ;   in Loop: Header=BB23_30 Depth=2
	v_add_nc_u32_e32 v9, s15, v9
	v_add_nc_u32_e32 v1, s15, v1
	s_delay_alu instid0(VALU_DEP_2) | instskip(SKIP_1) | instid1(SALU_CYCLE_1)
	v_cmp_le_i32_e32 vcc_lo, s24, v9
	s_or_b32 s28, vcc_lo, s28
	s_and_not1_b32 exec_lo, exec_lo, s28
	s_cbranch_execz .LBB23_34
.LBB23_30:                              ;   Parent Loop BB23_4 Depth=1
                                        ; =>  This Loop Header: Depth=2
                                        ;       Child Loop BB23_32 Depth 3
	s_and_not1_b32 vcc_lo, exec_lo, s8
	s_cbranch_vccnz .LBB23_29
; %bb.31:                               ;   in Loop: Header=BB23_30 Depth=2
	v_lshlrev_b64 v[2:3], 3, v[9:10]
	v_add_nc_u32_e32 v11, s34, v9
	s_mov_b32 s29, 0
	s_delay_alu instid0(VALU_DEP_2) | instskip(NEXT) | instid1(VALU_DEP_3)
	v_add_co_u32 v2, vcc_lo, s79, v2
	v_add_co_ci_u32_e32 v3, vcc_lo, s80, v3, vcc_lo
	global_load_b64 v[3:4], v[2:3], off
	v_ashrrev_i32_e32 v2, 31, v1
	s_delay_alu instid0(VALU_DEP_1) | instskip(SKIP_1) | instid1(VALU_DEP_2)
	v_lshlrev_b64 v[7:8], 3, v[1:2]
	v_add_nc_u32_e32 v2, s3, v9
	v_add_co_u32 v7, vcc_lo, s9, v7
	s_delay_alu instid0(VALU_DEP_3)
	v_add_co_ci_u32_e32 v8, vcc_lo, s25, v8, vcc_lo
.LBB23_32:                              ;   Parent Loop BB23_4 Depth=1
                                        ;     Parent Loop BB23_30 Depth=2
                                        ; =>    This Inner Loop Header: Depth=3
	v_add_nc_u32_e32 v11, s34, v11
	s_waitcnt vmcnt(0)
	global_store_b64 v[7:8], v[3:4], off
	v_add_co_u32 v7, s1, v7, s16
	s_delay_alu instid0(VALU_DEP_1) | instskip(SKIP_2) | instid1(SALU_CYCLE_1)
	v_add_co_ci_u32_e64 v8, s1, s17, v8, s1
	v_cmp_ge_i32_e32 vcc_lo, v11, v2
	s_or_b32 s29, vcc_lo, s29
	s_and_not1_b32 exec_lo, exec_lo, s29
	s_cbranch_execnz .LBB23_32
; %bb.33:                               ;   in Loop: Header=BB23_30 Depth=2
	s_or_b32 exec_lo, exec_lo, s29
	s_branch .LBB23_29
.LBB23_34:                              ;   in Loop: Header=BB23_4 Depth=1
	s_set_inst_prefetch_distance 0x2
	s_or_b32 exec_lo, exec_lo, s2
	v_cmp_gt_i32_e32 vcc_lo, s75, v0
	s_and_saveexec_b32 s3, vcc_lo
	s_cbranch_execz .LBB23_37
; %bb.35:                               ;   in Loop: Header=BB23_4 Depth=1
	s_lshl_b64 s[8:9], s[4:5], 3
	v_mov_b32_e32 v3, v0
	v_add_co_u32 v1, s1, v64, s8
	s_delay_alu instid0(VALU_DEP_1)
	v_add_co_ci_u32_e64 v2, null, 0, s9, s1
	s_lshl_b32 s8, s15, 3
	s_mov_b32 s9, 0
	.p2align	6
.LBB23_36:                              ;   Parent Loop BB23_4 Depth=1
                                        ; =>  This Inner Loop Header: Depth=2
	s_delay_alu instid0(VALU_DEP_2) | instskip(NEXT) | instid1(VALU_DEP_1)
	v_add_co_u32 v7, s1, s49, v1
	v_add_co_ci_u32_e64 v8, s1, s50, v2, s1
	v_add_nc_u32_e32 v3, s15, v3
	v_add_co_u32 v11, s1, s11, v1
	global_load_b64 v[7:8], v[7:8], off
	v_add_co_ci_u32_e64 v12, s1, s61, v2, s1
	v_cmp_le_i32_e64 s1, s75, v3
	v_add_co_u32 v1, s2, v1, s8
	s_delay_alu instid0(VALU_DEP_1) | instskip(NEXT) | instid1(VALU_DEP_3)
	v_add_co_ci_u32_e64 v2, s2, 0, v2, s2
	s_or_b32 s9, s1, s9
	s_waitcnt vmcnt(0)
	global_store_b64 v[11:12], v[7:8], off
	s_and_not1_b32 exec_lo, exec_lo, s9
	s_cbranch_execnz .LBB23_36
.LBB23_37:                              ;   in Loop: Header=BB23_4 Depth=1
	s_or_b32 exec_lo, exec_lo, s3
	s_lshl_b64 s[38:39], s[4:5], 3
	s_waitcnt_vscnt null, 0x0
	s_add_u32 s28, s59, s38
	s_addc_u32 s29, s60, s39
	s_barrier
	buffer_gl0_inv
	s_and_saveexec_b32 s82, vcc_lo
	s_cbranch_execz .LBB23_237
; %bb.38:                               ;   in Loop: Header=BB23_4 Depth=1
	v_add_f64 v[1:2], v[5:6], v[5:6]
	s_add_u32 s83, s11, s38
	s_addc_u32 s84, s61, s39
	s_add_i32 s40, s24, -1
	s_add_i32 s85, s24, -2
	s_cmp_gt_i32 s24, 2
	v_mov_b32_e32 v9, v0
	s_cselect_b32 s86, -1, 0
	s_ashr_i32 s25, s24, 31
	s_mov_b32 s90, 0
	s_lshl_b64 s[42:43], s[24:25], 3
	s_delay_alu instid0(SALU_CYCLE_1)
	s_add_u32 s44, s28, s42
	s_addc_u32 s45, s29, s43
	s_cmp_gt_i32 s24, 1
	s_cselect_b32 s25, -1, 0
	s_add_u32 s87, s77, 8
	s_addc_u32 s88, s78, 0
	s_ashr_i32 s41, s40, 31
	s_delay_alu instid0(SALU_CYCLE_1) | instskip(NEXT) | instid1(SALU_CYCLE_1)
	s_lshl_b64 s[2:3], s[40:41], 3
	s_add_u32 s4, s6, s2
	s_addc_u32 s5, s7, s3
	s_add_u32 s41, s62, s4
	s_addc_u32 s89, s63, s5
	;; [unrolled: 2-line block ×4, first 2 shown]
	s_delay_alu instid0(VALU_DEP_2) | instskip(SKIP_1) | instid1(VALU_DEP_1)
	v_cmp_gt_f64_e64 s1, 0, v[1:2]
	v_xor_b32_e32 v3, 0x80000000, v2
	v_cndmask_b32_e64 v12, v2, v3, s1
	v_cndmask_b32_e64 v11, v1, v1, s1
	s_delay_alu instid0(VALU_DEP_1) | instskip(SKIP_2) | instid1(VALU_DEP_3)
	v_div_scale_f64 v[1:2], null, v[11:12], v[11:12], 1.0
	v_div_scale_f64 v[7:8], vcc_lo, 1.0, v[11:12], 1.0
	v_mul_f64 v[17:18], v[11:12], 0.5
	v_rcp_f64_e32 v[3:4], v[1:2]
	s_waitcnt_depctr 0xfff
	v_fma_f64 v[5:6], -v[1:2], v[3:4], 1.0
	s_delay_alu instid0(VALU_DEP_1) | instskip(NEXT) | instid1(VALU_DEP_1)
	v_fma_f64 v[3:4], v[3:4], v[5:6], v[3:4]
	v_fma_f64 v[5:6], -v[1:2], v[3:4], 1.0
	s_delay_alu instid0(VALU_DEP_1) | instskip(NEXT) | instid1(VALU_DEP_1)
	v_fma_f64 v[3:4], v[3:4], v[5:6], v[3:4]
	v_mul_f64 v[5:6], v[7:8], v[3:4]
	s_delay_alu instid0(VALU_DEP_1) | instskip(NEXT) | instid1(VALU_DEP_1)
	v_fma_f64 v[1:2], -v[1:2], v[5:6], v[7:8]
	v_div_fmas_f64 v[1:2], v[1:2], v[3:4], v[5:6]
	s_delay_alu instid0(VALU_DEP_1) | instskip(NEXT) | instid1(VALU_DEP_1)
	v_div_fixup_f64 v[13:14], v[1:2], v[11:12], 1.0
	v_add_f64 v[15:16], v[13:14], v[13:14]
	s_branch .LBB23_40
.LBB23_39:                              ;   in Loop: Header=BB23_40 Depth=2
	s_or_b32 exec_lo, exec_lo, s91
	v_add_nc_u32_e32 v9, s15, v9
	s_delay_alu instid0(VALU_DEP_1) | instskip(SKIP_1) | instid1(SALU_CYCLE_1)
	v_cmp_le_i32_e32 vcc_lo, s75, v9
	s_or_b32 s90, vcc_lo, s90
	s_and_not1_b32 exec_lo, exec_lo, s90
	s_cbranch_execz .LBB23_237
.LBB23_40:                              ;   Parent Loop BB23_4 Depth=1
                                        ; =>  This Loop Header: Depth=2
                                        ;       Child Loop BB23_46 Depth 3
                                        ;       Child Loop BB23_53 Depth 3
	;; [unrolled: 1-line block ×10, first 2 shown]
                                        ;         Child Loop BB23_161 Depth 4
                                        ;         Child Loop BB23_165 Depth 4
                                        ;       Child Loop BB23_171 Depth 3
                                        ;       Child Loop BB23_187 Depth 3
	;; [unrolled: 1-line block ×5, first 2 shown]
                                        ;         Child Loop BB23_231 Depth 4
	v_lshlrev_b64 v[1:2], 2, v[9:10]
	s_mov_b32 s91, exec_lo
	s_delay_alu instid0(VALU_DEP_1) | instskip(NEXT) | instid1(VALU_DEP_2)
	v_add_co_u32 v1, vcc_lo, s87, v1
	v_add_co_ci_u32_e32 v2, vcc_lo, s88, v2, vcc_lo
	global_load_b32 v1, v[1:2], off
	s_waitcnt vmcnt(0)
	v_cmpx_eq_u32_e32 1, v1
	s_cbranch_execz .LBB23_39
; %bb.41:                               ;   in Loop: Header=BB23_40 Depth=2
	v_mul_lo_u32 v3, v9, s34
	s_and_not1_b32 vcc_lo, exec_lo, s81
	s_cbranch_vccnz .LBB23_43
; %bb.42:                               ;   in Loop: Header=BB23_40 Depth=2
	v_mul_lo_u32 v41, v9, s34
	s_mov_b32 s2, 0
	s_mov_b32 s3, 0
	s_branch .LBB23_44
.LBB23_43:                              ;   in Loop: Header=BB23_40 Depth=2
	s_mov_b32 s2, -1
                                        ; implicit-def: $sgpr3
                                        ; implicit-def: $vgpr41
.LBB23_44:                              ;   in Loop: Header=BB23_40 Depth=2
	v_lshlrev_b64 v[1:2], 3, v[9:10]
	v_mov_b32_e32 v7, s3
	s_delay_alu instid0(VALU_DEP_2) | instskip(NEXT) | instid1(VALU_DEP_3)
	v_add_co_u32 v19, vcc_lo, s83, v1
	v_add_co_ci_u32_e32 v20, vcc_lo, s84, v2, vcc_lo
	s_and_not1_b32 vcc_lo, exec_lo, s2
	s_cbranch_vccnz .LBB23_48
; %bb.45:                               ;   in Loop: Header=BB23_40 Depth=2
	global_load_b64 v[1:2], v[19:20], off
	v_mov_b32_e32 v7, 0
	s_mov_b32 s3, 0
	s_waitcnt vmcnt(0)
	v_xor_b32_e32 v4, 0x80000000, v2
	v_cndmask_b32_e64 v1, v1, v1, s1
	s_delay_alu instid0(VALU_DEP_2)
	v_cndmask_b32_e64 v2, v2, v4, s1
	v_mov_b32_e32 v4, s24
	.p2align	6
.LBB23_46:                              ;   Parent Loop BB23_4 Depth=1
                                        ;     Parent Loop BB23_40 Depth=2
                                        ; =>    This Inner Loop Header: Depth=3
	s_delay_alu instid0(VALU_DEP_1) | instskip(NEXT) | instid1(VALU_DEP_1)
	v_lshrrev_b32_e32 v8, 1, v4
	v_add_nc_u32_e32 v21, v7, v8
	v_xad_u32 v4, v8, -1, v4
	s_delay_alu instid0(VALU_DEP_2) | instskip(NEXT) | instid1(VALU_DEP_1)
	v_add_nc_u32_e32 v5, v21, v3
	v_ashrrev_i32_e32 v6, 31, v5
	s_delay_alu instid0(VALU_DEP_1) | instskip(NEXT) | instid1(VALU_DEP_1)
	v_lshlrev_b64 v[5:6], 3, v[5:6]
	v_add_co_u32 v5, vcc_lo, s79, v5
	s_delay_alu instid0(VALU_DEP_2) | instskip(SKIP_4) | instid1(VALU_DEP_1)
	v_add_co_ci_u32_e32 v6, vcc_lo, s80, v6, vcc_lo
	global_load_b64 v[5:6], v[5:6], off
	s_waitcnt vmcnt(0)
	v_cmp_lt_f64_e32 vcc_lo, v[5:6], v[1:2]
	v_dual_cndmask_b32 v4, v8, v4 :: v_dual_add_nc_u32 v5, 1, v21
	v_cndmask_b32_e32 v7, v7, v5, vcc_lo
	s_delay_alu instid0(VALU_DEP_2) | instskip(NEXT) | instid1(VALU_DEP_1)
	v_cmp_gt_i32_e64 s2, 1, v4
	s_or_b32 s3, s2, s3
	s_delay_alu instid0(SALU_CYCLE_1)
	s_and_not1_b32 exec_lo, exec_lo, s3
	s_cbranch_execnz .LBB23_46
; %bb.47:                               ;   in Loop: Header=BB23_40 Depth=2
	s_or_b32 exec_lo, exec_lo, s3
	v_mov_b32_e32 v41, v3
.LBB23_48:                              ;   in Loop: Header=BB23_40 Depth=2
	s_delay_alu instid0(VALU_DEP_1) | instskip(NEXT) | instid1(VALU_DEP_1)
	v_ashrrev_i32_e32 v42, 31, v41
                                        ; implicit-def: $vgpr5_vgpr6
	v_lshlrev_b64 v[39:40], 3, v[41:42]
	s_delay_alu instid0(VALU_DEP_1) | instskip(NEXT) | instid1(VALU_DEP_1)
	v_add_co_u32 v21, s2, s79, v39
	v_add_co_ci_u32_e64 v22, s2, s80, v40, s2
	s_mov_b32 s2, exec_lo
	v_cmpx_ne_u32_e64 s40, v7
	s_xor_b32 s92, exec_lo, s2
	s_cbranch_execnz .LBB23_51
; %bb.49:                               ;   in Loop: Header=BB23_40 Depth=2
	s_and_not1_saveexec_b32 s6, s92
	s_cbranch_execnz .LBB23_169
.LBB23_50:                              ;   in Loop: Header=BB23_40 Depth=2
	s_or_b32 exec_lo, exec_lo, s6
	global_store_b64 v[19:20], v[5:6], off
	s_and_b32 exec_lo, exec_lo, s1
	s_cbranch_execz .LBB23_39
	s_branch .LBB23_236
.LBB23_51:                              ;   in Loop: Header=BB23_40 Depth=2
	v_mov_b32_e32 v8, v10
	s_mov_b32 s3, exec_lo
	s_delay_alu instid0(VALU_DEP_1) | instskip(NEXT) | instid1(VALU_DEP_1)
	v_lshlrev_b64 v[25:26], 3, v[7:8]
	v_add_co_u32 v23, vcc_lo, v21, v25
	s_delay_alu instid0(VALU_DEP_2) | instskip(SKIP_3) | instid1(VALU_DEP_1)
	v_add_co_ci_u32_e32 v24, vcc_lo, v22, v26, vcc_lo
	global_load_b128 v[1:4], v[23:24], off
	s_waitcnt vmcnt(0)
	v_add_f64 v[5:6], v[1:2], v[3:4]
	v_mul_f64 v[28:29], v[5:6], 0.5
	v_mov_b32_e32 v5, 0
	v_mov_b32_e32 v6, 0
	v_cmpx_lt_i32_e32 0, v7
	s_cbranch_execz .LBB23_55
; %bb.52:                               ;   in Loop: Header=BB23_40 Depth=2
	v_mov_b32_e32 v5, 0
	v_dual_mov_b32 v6, 0 :: v_dual_mov_b32 v31, v22
	v_mov_b32_e32 v30, v21
	v_mov_b32_e32 v8, v7
	s_mov_b32 s6, 0
	s_mov_b64 s[4:5], s[28:29]
	s_set_inst_prefetch_distance 0x1
	.p2align	6
.LBB23_53:                              ;   Parent Loop BB23_4 Depth=1
                                        ;     Parent Loop BB23_40 Depth=2
                                        ; =>    This Inner Loop Header: Depth=3
	global_load_b64 v[32:33], v[30:31], off
	global_load_b64 v[34:35], v10, s[4:5]
	v_add_nc_u32_e32 v8, -1, v8
	s_add_u32 s4, s4, 8
	s_addc_u32 s5, s5, 0
	s_delay_alu instid0(VALU_DEP_1) | instskip(NEXT) | instid1(VALU_DEP_1)
	v_cmp_eq_u32_e64 s2, 0, v8
	s_or_b32 s6, s2, s6
	s_waitcnt vmcnt(1)
	v_add_f64 v[32:33], v[32:33], -v[28:29]
	s_waitcnt vmcnt(0)
	s_delay_alu instid0(VALU_DEP_1) | instskip(SKIP_1) | instid1(VALU_DEP_2)
	v_div_scale_f64 v[36:37], null, v[32:33], v[32:33], v[34:35]
	v_div_scale_f64 v[47:48], vcc_lo, v[34:35], v[32:33], v[34:35]
	v_rcp_f64_e32 v[43:44], v[36:37]
	s_waitcnt_depctr 0xfff
	v_fma_f64 v[45:46], -v[36:37], v[43:44], 1.0
	s_delay_alu instid0(VALU_DEP_1) | instskip(NEXT) | instid1(VALU_DEP_1)
	v_fma_f64 v[43:44], v[43:44], v[45:46], v[43:44]
	v_fma_f64 v[45:46], -v[36:37], v[43:44], 1.0
	s_delay_alu instid0(VALU_DEP_1) | instskip(NEXT) | instid1(VALU_DEP_1)
	v_fma_f64 v[43:44], v[43:44], v[45:46], v[43:44]
	v_mul_f64 v[45:46], v[47:48], v[43:44]
	s_delay_alu instid0(VALU_DEP_1) | instskip(NEXT) | instid1(VALU_DEP_1)
	v_fma_f64 v[36:37], -v[36:37], v[45:46], v[47:48]
	v_div_fmas_f64 v[36:37], v[36:37], v[43:44], v[45:46]
	v_add_co_u32 v30, vcc_lo, v30, 8
	v_add_co_ci_u32_e32 v31, vcc_lo, 0, v31, vcc_lo
	s_delay_alu instid0(VALU_DEP_3) | instskip(NEXT) | instid1(VALU_DEP_1)
	v_div_fixup_f64 v[32:33], v[36:37], v[32:33], v[34:35]
	v_fma_f64 v[5:6], v[34:35], v[32:33], v[5:6]
	s_and_not1_b32 exec_lo, exec_lo, s6
	s_cbranch_execnz .LBB23_53
; %bb.54:                               ;   in Loop: Header=BB23_40 Depth=2
	s_set_inst_prefetch_distance 0x2
	s_or_b32 exec_lo, exec_lo, s6
.LBB23_55:                              ;   in Loop: Header=BB23_40 Depth=2
	s_delay_alu instid0(SALU_CYCLE_1) | instskip(SKIP_3) | instid1(VALU_DEP_1)
	s_or_b32 exec_lo, exec_lo, s3
	v_mov_b32_e32 v31, 0
	v_dual_mov_b32 v32, 0 :: v_dual_add_nc_u32 v27, 1, v7
	s_mov_b32 s3, exec_lo
	v_cmpx_gt_i32_e64 s40, v27
	s_cbranch_execz .LBB23_59
; %bb.56:                               ;   in Loop: Header=BB23_40 Depth=2
	v_lshlrev_b64 v[33:34], 3, v[41:42]
	v_mov_b32_e32 v31, 0
	v_mov_b32_e32 v32, 0
	s_mov_b32 s6, 0
	s_mov_b64 s[4:5], s[46:47]
	s_mov_b32 s7, s40
	v_add_co_u32 v33, vcc_lo, s41, v33
	v_add_co_ci_u32_e32 v34, vcc_lo, s89, v34, vcc_lo
	s_set_inst_prefetch_distance 0x1
	.p2align	6
.LBB23_57:                              ;   Parent Loop BB23_4 Depth=1
                                        ;     Parent Loop BB23_40 Depth=2
                                        ; =>    This Inner Loop Header: Depth=3
	global_load_b64 v[35:36], v[33:34], off
	global_load_b64 v[37:38], v10, s[4:5]
	s_add_i32 s7, s7, -1
	s_add_u32 s4, s4, -8
	v_cmp_le_i32_e64 s2, s7, v27
	s_addc_u32 s5, s5, -1
	s_delay_alu instid0(VALU_DEP_1) | instskip(SKIP_3) | instid1(VALU_DEP_1)
	s_or_b32 s6, s2, s6
	s_waitcnt vmcnt(1)
	v_add_f64 v[35:36], v[35:36], -v[28:29]
	s_waitcnt vmcnt(0)
	v_div_scale_f64 v[43:44], null, v[35:36], v[35:36], v[37:38]
	v_div_scale_f64 v[49:50], vcc_lo, v[37:38], v[35:36], v[37:38]
	s_delay_alu instid0(VALU_DEP_2) | instskip(SKIP_2) | instid1(VALU_DEP_1)
	v_rcp_f64_e32 v[45:46], v[43:44]
	s_waitcnt_depctr 0xfff
	v_fma_f64 v[47:48], -v[43:44], v[45:46], 1.0
	v_fma_f64 v[45:46], v[45:46], v[47:48], v[45:46]
	s_delay_alu instid0(VALU_DEP_1) | instskip(NEXT) | instid1(VALU_DEP_1)
	v_fma_f64 v[47:48], -v[43:44], v[45:46], 1.0
	v_fma_f64 v[45:46], v[45:46], v[47:48], v[45:46]
	s_delay_alu instid0(VALU_DEP_1) | instskip(NEXT) | instid1(VALU_DEP_1)
	v_mul_f64 v[47:48], v[49:50], v[45:46]
	v_fma_f64 v[43:44], -v[43:44], v[47:48], v[49:50]
	s_delay_alu instid0(VALU_DEP_1) | instskip(SKIP_2) | instid1(VALU_DEP_3)
	v_div_fmas_f64 v[43:44], v[43:44], v[45:46], v[47:48]
	v_add_co_u32 v33, vcc_lo, v33, -8
	v_add_co_ci_u32_e32 v34, vcc_lo, -1, v34, vcc_lo
	v_div_fixup_f64 v[35:36], v[43:44], v[35:36], v[37:38]
	s_delay_alu instid0(VALU_DEP_1)
	v_fma_f64 v[31:32], v[37:38], v[35:36], v[31:32]
	s_and_not1_b32 exec_lo, exec_lo, s6
	s_cbranch_execnz .LBB23_57
; %bb.58:                               ;   in Loop: Header=BB23_40 Depth=2
	s_set_inst_prefetch_distance 0x2
	s_or_b32 exec_lo, exec_lo, s6
.LBB23_59:                              ;   in Loop: Header=BB23_40 Depth=2
	s_delay_alu instid0(SALU_CYCLE_1)
	s_or_b32 exec_lo, exec_lo, s3
	v_add_co_u32 v25, vcc_lo, s28, v25
	v_add_co_ci_u32_e32 v26, vcc_lo, s29, v26, vcc_lo
	v_add_f64 v[29:30], v[3:4], -v[1:2]
	v_add_f64 v[5:6], v[13:14], v[5:6]
                                        ; implicit-def: $sgpr6_sgpr7
	global_load_b128 v[35:38], v[25:26], off
	s_waitcnt vmcnt(0)
	v_mul_f64 v[35:36], v[35:36], v[35:36]
	s_delay_alu instid0(VALU_DEP_1) | instskip(SKIP_1) | instid1(VALU_DEP_2)
	v_fma_f64 v[33:34], v[37:38], v[37:38], -v[35:36]
	v_mul_f64 v[37:38], v[37:38], v[37:38]
	v_add_f64 v[43:44], v[33:34], v[33:34]
	s_delay_alu instid0(VALU_DEP_1) | instskip(SKIP_1) | instid1(VALU_DEP_2)
	v_div_scale_f64 v[33:34], null, v[29:30], v[29:30], v[43:44]
	v_div_scale_f64 v[49:50], vcc_lo, v[43:44], v[29:30], v[43:44]
	v_rcp_f64_e32 v[45:46], v[33:34]
	s_waitcnt_depctr 0xfff
	v_fma_f64 v[47:48], -v[33:34], v[45:46], 1.0
	s_delay_alu instid0(VALU_DEP_1) | instskip(NEXT) | instid1(VALU_DEP_1)
	v_fma_f64 v[45:46], v[45:46], v[47:48], v[45:46]
	v_fma_f64 v[47:48], -v[33:34], v[45:46], 1.0
	s_delay_alu instid0(VALU_DEP_1) | instskip(NEXT) | instid1(VALU_DEP_1)
	v_fma_f64 v[45:46], v[45:46], v[47:48], v[45:46]
	v_mul_f64 v[47:48], v[49:50], v[45:46]
	s_delay_alu instid0(VALU_DEP_1) | instskip(NEXT) | instid1(VALU_DEP_1)
	v_fma_f64 v[33:34], -v[33:34], v[47:48], v[49:50]
	v_div_fmas_f64 v[45:46], v[33:34], v[45:46], v[47:48]
	v_add_f64 v[33:34], v[5:6], v[31:32]
	s_delay_alu instid0(VALU_DEP_2) | instskip(NEXT) | instid1(VALU_DEP_2)
	v_div_fixup_f64 v[5:6], v[45:46], v[29:30], v[43:44]
	v_mul_f64 v[49:50], v[29:30], v[33:34]
                                        ; implicit-def: $vgpr43_vgpr44
                                        ; implicit-def: $vgpr45_vgpr46
	s_delay_alu instid0(VALU_DEP_2) | instskip(NEXT) | instid1(VALU_DEP_1)
	v_add_f64 v[5:6], v[33:34], v[5:6]
	v_cmp_lt_f64_e64 s5, 0, v[5:6]
	v_cmp_nlt_f64_e64 s2, 0, v[5:6]
                                        ; implicit-def: $vgpr5_vgpr6
	s_delay_alu instid0(VALU_DEP_1) | instskip(NEXT) | instid1(SALU_CYCLE_1)
	s_and_saveexec_b32 s3, s2
	s_xor_b32 s4, exec_lo, s3
	s_cbranch_execz .LBB23_65
; %bb.60:                               ;   in Loop: Header=BB23_40 Depth=2
	v_mul_f64 v[5:6], v[29:30], v[37:38]
	v_add_f64 v[7:8], v[49:50], -v[35:36]
	s_delay_alu instid0(VALU_DEP_2) | instskip(NEXT) | instid1(VALU_DEP_2)
	v_mul_f64 v[31:32], v[5:6], 4.0
	v_add_f64 v[7:8], v[7:8], -v[37:38]
	s_delay_alu instid0(VALU_DEP_2) | instskip(NEXT) | instid1(VALU_DEP_1)
	v_mul_f64 v[31:32], v[33:34], v[31:32]
	v_fma_f64 v[31:32], v[7:8], v[7:8], v[31:32]
	s_delay_alu instid0(VALU_DEP_1) | instskip(NEXT) | instid1(VALU_DEP_1)
	v_cmp_gt_f64_e64 s3, 0x10000000, |v[31:32]|
	v_cndmask_b32_e64 v28, 0, 1, s3
	s_delay_alu instid0(VALU_DEP_1) | instskip(NEXT) | instid1(VALU_DEP_1)
	v_lshlrev_b32_e32 v28, 8, v28
	v_ldexp_f64 v[31:32], |v[31:32]|, v28
	v_cndmask_b32_e64 v28, 0, 0xffffff80, s3
	v_cmp_ngt_f64_e64 s3, 0, v[7:8]
	s_delay_alu instid0(VALU_DEP_3) | instskip(SKIP_4) | instid1(VALU_DEP_1)
	v_rsq_f64_e32 v[35:36], v[31:32]
	v_cmp_class_f64_e64 vcc_lo, v[31:32], 0x260
	s_waitcnt_depctr 0xfff
	v_mul_f64 v[37:38], v[31:32], v[35:36]
	v_mul_f64 v[35:36], v[35:36], 0.5
	v_fma_f64 v[43:44], -v[35:36], v[37:38], 0.5
	s_delay_alu instid0(VALU_DEP_1) | instskip(SKIP_1) | instid1(VALU_DEP_2)
	v_fma_f64 v[37:38], v[37:38], v[43:44], v[37:38]
	v_fma_f64 v[35:36], v[35:36], v[43:44], v[35:36]
	v_fma_f64 v[43:44], -v[37:38], v[37:38], v[31:32]
	s_delay_alu instid0(VALU_DEP_1) | instskip(NEXT) | instid1(VALU_DEP_1)
	v_fma_f64 v[37:38], v[43:44], v[35:36], v[37:38]
	v_fma_f64 v[43:44], -v[37:38], v[37:38], v[31:32]
	s_delay_alu instid0(VALU_DEP_1) | instskip(NEXT) | instid1(VALU_DEP_1)
	v_fma_f64 v[35:36], v[43:44], v[35:36], v[37:38]
                                        ; implicit-def: $vgpr43_vgpr44
	v_ldexp_f64 v[35:36], v[35:36], v28
	s_delay_alu instid0(VALU_DEP_1) | instskip(SKIP_1) | instid1(SALU_CYCLE_1)
	v_dual_cndmask_b32 v31, v35, v31 :: v_dual_cndmask_b32 v32, v36, v32
	s_and_saveexec_b32 s6, s3
	s_xor_b32 s3, exec_lo, s6
	s_cbranch_execz .LBB23_62
; %bb.61:                               ;   in Loop: Header=BB23_40 Depth=2
	s_delay_alu instid0(VALU_DEP_1) | instskip(SKIP_1) | instid1(VALU_DEP_1)
	v_add_f64 v[5:6], v[7:8], v[31:32]
	v_add_f64 v[7:8], v[33:34], v[33:34]
	v_div_scale_f64 v[31:32], null, v[7:8], v[7:8], -v[5:6]
	s_delay_alu instid0(VALU_DEP_1) | instskip(SKIP_2) | instid1(VALU_DEP_1)
	v_rcp_f64_e32 v[33:34], v[31:32]
	s_waitcnt_depctr 0xfff
	v_fma_f64 v[35:36], -v[31:32], v[33:34], 1.0
	v_fma_f64 v[33:34], v[33:34], v[35:36], v[33:34]
	s_delay_alu instid0(VALU_DEP_1) | instskip(NEXT) | instid1(VALU_DEP_1)
	v_fma_f64 v[35:36], -v[31:32], v[33:34], 1.0
	v_fma_f64 v[33:34], v[33:34], v[35:36], v[33:34]
	v_div_scale_f64 v[35:36], vcc_lo, -v[5:6], v[7:8], -v[5:6]
	s_delay_alu instid0(VALU_DEP_1) | instskip(NEXT) | instid1(VALU_DEP_1)
	v_mul_f64 v[37:38], v[35:36], v[33:34]
	v_fma_f64 v[31:32], -v[31:32], v[37:38], v[35:36]
	s_delay_alu instid0(VALU_DEP_1) | instskip(NEXT) | instid1(VALU_DEP_1)
	v_div_fmas_f64 v[31:32], v[31:32], v[33:34], v[37:38]
	v_div_fixup_f64 v[43:44], v[31:32], v[7:8], -v[5:6]
                                        ; implicit-def: $vgpr5_vgpr6
                                        ; implicit-def: $vgpr7_vgpr8
                                        ; implicit-def: $vgpr31_vgpr32
.LBB23_62:                              ;   in Loop: Header=BB23_40 Depth=2
	s_and_not1_saveexec_b32 s3, s3
	s_cbranch_execz .LBB23_64
; %bb.63:                               ;   in Loop: Header=BB23_40 Depth=2
	v_add_f64 v[5:6], v[5:6], v[5:6]
	v_add_f64 v[7:8], v[7:8], -v[31:32]
	s_delay_alu instid0(VALU_DEP_1) | instskip(NEXT) | instid1(VALU_DEP_1)
	v_div_scale_f64 v[31:32], null, v[7:8], v[7:8], v[5:6]
	v_rcp_f64_e32 v[33:34], v[31:32]
	s_waitcnt_depctr 0xfff
	v_fma_f64 v[35:36], -v[31:32], v[33:34], 1.0
	s_delay_alu instid0(VALU_DEP_1) | instskip(NEXT) | instid1(VALU_DEP_1)
	v_fma_f64 v[33:34], v[33:34], v[35:36], v[33:34]
	v_fma_f64 v[35:36], -v[31:32], v[33:34], 1.0
	s_delay_alu instid0(VALU_DEP_1) | instskip(SKIP_1) | instid1(VALU_DEP_1)
	v_fma_f64 v[33:34], v[33:34], v[35:36], v[33:34]
	v_div_scale_f64 v[35:36], vcc_lo, v[5:6], v[7:8], v[5:6]
	v_mul_f64 v[37:38], v[35:36], v[33:34]
	s_delay_alu instid0(VALU_DEP_1) | instskip(NEXT) | instid1(VALU_DEP_1)
	v_fma_f64 v[31:32], -v[31:32], v[37:38], v[35:36]
	v_div_fmas_f64 v[31:32], v[31:32], v[33:34], v[37:38]
	s_delay_alu instid0(VALU_DEP_1)
	v_div_fixup_f64 v[43:44], v[31:32], v[7:8], v[5:6]
.LBB23_64:                              ;   in Loop: Header=BB23_40 Depth=2
	s_or_b32 exec_lo, exec_lo, s3
	v_mul_f64 v[45:46], v[29:30], -0.5
	s_delay_alu instid0(VALU_DEP_2)
	v_add_f64 v[5:6], v[3:4], v[43:44]
	s_mov_b64 s[6:7], 0
                                        ; implicit-def: $vgpr49_vgpr50
                                        ; implicit-def: $vgpr35_vgpr36
                                        ; implicit-def: $vgpr37_vgpr38
                                        ; implicit-def: $vgpr33_vgpr34
                                        ; implicit-def: $vgpr7
.LBB23_65:                              ;   in Loop: Header=BB23_40 Depth=2
	s_or_saveexec_b32 s4, s4
	v_dual_mov_b32 v48, s7 :: v_dual_mov_b32 v47, s6
	v_dual_mov_b32 v32, v4 :: v_dual_mov_b32 v31, v3
	s_xor_b32 exec_lo, exec_lo, s4
	s_cbranch_execz .LBB23_71
; %bb.66:                               ;   in Loop: Header=BB23_40 Depth=2
	v_mul_f64 v[5:6], v[29:30], v[35:36]
	v_add_f64 v[27:28], v[49:50], v[35:36]
	s_delay_alu instid0(VALU_DEP_2) | instskip(NEXT) | instid1(VALU_DEP_2)
	v_mul_f64 v[31:32], v[5:6], -4.0
	v_add_f64 v[27:28], v[27:28], v[37:38]
	s_delay_alu instid0(VALU_DEP_2) | instskip(NEXT) | instid1(VALU_DEP_1)
	v_mul_f64 v[31:32], v[33:34], v[31:32]
	v_fma_f64 v[31:32], v[27:28], v[27:28], v[31:32]
	s_delay_alu instid0(VALU_DEP_1) | instskip(NEXT) | instid1(VALU_DEP_1)
	v_cmp_gt_f64_e64 s3, 0x10000000, |v[31:32]|
	v_cndmask_b32_e64 v8, 0, 1, s3
	s_delay_alu instid0(VALU_DEP_1) | instskip(NEXT) | instid1(VALU_DEP_1)
	v_lshlrev_b32_e32 v8, 8, v8
	v_ldexp_f64 v[31:32], |v[31:32]|, v8
	v_cndmask_b32_e64 v8, 0, 0xffffff80, s3
	v_cmp_nlt_f64_e64 s3, 0, v[27:28]
	s_delay_alu instid0(VALU_DEP_3) | instskip(SKIP_4) | instid1(VALU_DEP_1)
	v_rsq_f64_e32 v[35:36], v[31:32]
	v_cmp_class_f64_e64 vcc_lo, v[31:32], 0x260
	s_waitcnt_depctr 0xfff
	v_mul_f64 v[37:38], v[31:32], v[35:36]
	v_mul_f64 v[35:36], v[35:36], 0.5
	v_fma_f64 v[43:44], -v[35:36], v[37:38], 0.5
	s_delay_alu instid0(VALU_DEP_1) | instskip(SKIP_1) | instid1(VALU_DEP_2)
	v_fma_f64 v[37:38], v[37:38], v[43:44], v[37:38]
	v_fma_f64 v[35:36], v[35:36], v[43:44], v[35:36]
	v_fma_f64 v[43:44], -v[37:38], v[37:38], v[31:32]
	s_delay_alu instid0(VALU_DEP_1) | instskip(NEXT) | instid1(VALU_DEP_1)
	v_fma_f64 v[37:38], v[43:44], v[35:36], v[37:38]
	v_fma_f64 v[43:44], -v[37:38], v[37:38], v[31:32]
	s_delay_alu instid0(VALU_DEP_1) | instskip(NEXT) | instid1(VALU_DEP_1)
	v_fma_f64 v[35:36], v[43:44], v[35:36], v[37:38]
                                        ; implicit-def: $vgpr43_vgpr44
	v_ldexp_f64 v[35:36], v[35:36], v8
	s_delay_alu instid0(VALU_DEP_1) | instskip(SKIP_1) | instid1(SALU_CYCLE_1)
	v_dual_cndmask_b32 v31, v35, v31 :: v_dual_cndmask_b32 v32, v36, v32
	s_and_saveexec_b32 s6, s3
	s_xor_b32 s3, exec_lo, s6
	s_cbranch_execz .LBB23_68
; %bb.67:                               ;   in Loop: Header=BB23_40 Depth=2
	s_delay_alu instid0(VALU_DEP_1) | instskip(SKIP_1) | instid1(VALU_DEP_1)
	v_add_f64 v[5:6], v[27:28], -v[31:32]
	v_add_f64 v[27:28], v[33:34], v[33:34]
	v_div_scale_f64 v[31:32], null, v[27:28], v[27:28], v[5:6]
	s_delay_alu instid0(VALU_DEP_1) | instskip(SKIP_2) | instid1(VALU_DEP_1)
	v_rcp_f64_e32 v[33:34], v[31:32]
	s_waitcnt_depctr 0xfff
	v_fma_f64 v[35:36], -v[31:32], v[33:34], 1.0
	v_fma_f64 v[33:34], v[33:34], v[35:36], v[33:34]
	s_delay_alu instid0(VALU_DEP_1) | instskip(NEXT) | instid1(VALU_DEP_1)
	v_fma_f64 v[35:36], -v[31:32], v[33:34], 1.0
	v_fma_f64 v[33:34], v[33:34], v[35:36], v[33:34]
	v_div_scale_f64 v[35:36], vcc_lo, v[5:6], v[27:28], v[5:6]
	s_delay_alu instid0(VALU_DEP_1) | instskip(NEXT) | instid1(VALU_DEP_1)
	v_mul_f64 v[37:38], v[35:36], v[33:34]
	v_fma_f64 v[31:32], -v[31:32], v[37:38], v[35:36]
	s_delay_alu instid0(VALU_DEP_1) | instskip(NEXT) | instid1(VALU_DEP_1)
	v_div_fmas_f64 v[31:32], v[31:32], v[33:34], v[37:38]
	v_div_fixup_f64 v[43:44], v[31:32], v[27:28], v[5:6]
                                        ; implicit-def: $vgpr5_vgpr6
                                        ; implicit-def: $vgpr27_vgpr28
                                        ; implicit-def: $vgpr31_vgpr32
.LBB23_68:                              ;   in Loop: Header=BB23_40 Depth=2
	s_and_not1_saveexec_b32 s3, s3
	s_cbranch_execz .LBB23_70
; %bb.69:                               ;   in Loop: Header=BB23_40 Depth=2
	v_add_f64 v[5:6], v[5:6], v[5:6]
	v_add_f64 v[27:28], v[27:28], v[31:32]
	s_delay_alu instid0(VALU_DEP_1) | instskip(NEXT) | instid1(VALU_DEP_1)
	v_div_scale_f64 v[31:32], null, v[27:28], v[27:28], v[5:6]
	v_rcp_f64_e32 v[33:34], v[31:32]
	s_waitcnt_depctr 0xfff
	v_fma_f64 v[35:36], -v[31:32], v[33:34], 1.0
	s_delay_alu instid0(VALU_DEP_1) | instskip(NEXT) | instid1(VALU_DEP_1)
	v_fma_f64 v[33:34], v[33:34], v[35:36], v[33:34]
	v_fma_f64 v[35:36], -v[31:32], v[33:34], 1.0
	s_delay_alu instid0(VALU_DEP_1) | instskip(SKIP_1) | instid1(VALU_DEP_1)
	v_fma_f64 v[33:34], v[33:34], v[35:36], v[33:34]
	v_div_scale_f64 v[35:36], vcc_lo, v[5:6], v[27:28], v[5:6]
	v_mul_f64 v[37:38], v[35:36], v[33:34]
	s_delay_alu instid0(VALU_DEP_1) | instskip(NEXT) | instid1(VALU_DEP_1)
	v_fma_f64 v[31:32], -v[31:32], v[37:38], v[35:36]
	v_div_fmas_f64 v[31:32], v[31:32], v[33:34], v[37:38]
	s_delay_alu instid0(VALU_DEP_1)
	v_div_fixup_f64 v[43:44], v[31:32], v[27:28], v[5:6]
.LBB23_70:                              ;   in Loop: Header=BB23_40 Depth=2
	s_or_b32 exec_lo, exec_lo, s3
	v_mul_f64 v[47:48], v[29:30], 0.5
	s_delay_alu instid0(VALU_DEP_2)
	v_add_f64 v[5:6], v[1:2], v[43:44]
	v_dual_mov_b32 v45, 0 :: v_dual_mov_b32 v32, v2
	v_dual_mov_b32 v46, 0 :: v_dual_mov_b32 v27, v7
	v_mov_b32_e32 v31, v1
.LBB23_71:                              ;   in Loop: Header=BB23_40 Depth=2
	s_or_b32 exec_lo, exec_lo, s4
	v_dual_mov_b32 v7, v21 :: v_dual_mov_b32 v8, v22
	s_mov_b32 s6, -1
	s_mov_b32 s4, 0
.LBB23_72:                              ;   Parent Loop BB23_4 Depth=1
                                        ;     Parent Loop BB23_40 Depth=2
                                        ; =>    This Inner Loop Header: Depth=3
	global_load_b64 v[33:34], v[7:8], off
	s_add_i32 s6, s6, 1
	s_delay_alu instid0(SALU_CYCLE_1)
	v_cmp_eq_u32_e32 vcc_lo, s6, v27
	s_or_b32 s4, vcc_lo, s4
	s_waitcnt vmcnt(0)
	v_add_f64 v[33:34], v[33:34], -v[31:32]
	global_store_b64 v[7:8], v[33:34], off
	v_add_co_u32 v7, s3, v7, 8
	s_delay_alu instid0(VALU_DEP_1)
	v_add_co_ci_u32_e64 v8, s3, 0, v8, s3
	s_and_not1_b32 exec_lo, exec_lo, s4
	s_cbranch_execnz .LBB23_72
; %bb.73:                               ;   in Loop: Header=BB23_40 Depth=2
	s_or_b32 exec_lo, exec_lo, s4
	v_cmp_le_i32_e64 s6, s40, v27
	v_cmp_gt_i32_e64 s3, s40, v27
	s_delay_alu instid0(VALU_DEP_1)
	s_and_saveexec_b32 s7, s3
	s_cbranch_execz .LBB23_76
; %bb.74:                               ;   in Loop: Header=BB23_40 Depth=2
	v_lshlrev_b64 v[7:8], 3, v[41:42]
	s_mov_b32 s8, 0
	s_mov_b32 s9, s40
	s_delay_alu instid0(VALU_DEP_1) | instskip(NEXT) | instid1(VALU_DEP_2)
	v_add_co_u32 v7, vcc_lo, s41, v7
	v_add_co_ci_u32_e32 v8, vcc_lo, s89, v8, vcc_lo
.LBB23_75:                              ;   Parent Loop BB23_4 Depth=1
                                        ;     Parent Loop BB23_40 Depth=2
                                        ; =>    This Inner Loop Header: Depth=3
	global_load_b64 v[33:34], v[7:8], off
	s_add_i32 s9, s9, -1
	s_delay_alu instid0(SALU_CYCLE_1)
	v_cmp_le_i32_e32 vcc_lo, s9, v27
	s_or_b32 s8, vcc_lo, s8
	s_waitcnt vmcnt(0)
	v_add_f64 v[33:34], v[33:34], -v[31:32]
	global_store_b64 v[7:8], v[33:34], off
	v_add_co_u32 v7, s4, v7, -8
	s_delay_alu instid0(VALU_DEP_1)
	v_add_co_ci_u32_e64 v8, s4, -1, v8, s4
	s_and_not1_b32 exec_lo, exec_lo, s8
	s_cbranch_execnz .LBB23_75
.LBB23_76:                              ;   in Loop: Header=BB23_40 Depth=2
	s_or_b32 exec_lo, exec_lo, s7
	v_mov_b32_e32 v28, v10
	v_cmp_lt_i32_e64 s4, 0, v27
	s_delay_alu instid0(VALU_DEP_2) | instskip(NEXT) | instid1(VALU_DEP_1)
	v_lshlrev_b64 v[35:36], 3, v[27:28]
	v_add_co_u32 v33, vcc_lo, v21, v35
	s_delay_alu instid0(VALU_DEP_2)
	v_add_co_ci_u32_e32 v34, vcc_lo, v22, v36, vcc_lo
	global_load_b64 v[7:8], v[33:34], off
	s_waitcnt vmcnt(0)
	v_add_f64 v[49:50], v[7:8], -v[43:44]
	v_mov_b32_e32 v7, 0
	v_mov_b32_e32 v8, 0
	s_delay_alu instid0(VALU_DEP_1)
	v_dual_mov_b32 v38, v8 :: v_dual_mov_b32 v37, v7
	v_dual_mov_b32 v52, v8 :: v_dual_mov_b32 v51, v7
	global_store_b64 v[33:34], v[49:50], off
	s_and_saveexec_b32 s93, s4
	s_cbranch_execz .LBB23_80
; %bb.77:                               ;   in Loop: Header=BB23_40 Depth=2
	v_dual_mov_b32 v7, 0 :: v_dual_mov_b32 v50, v22
	v_dual_mov_b32 v8, 0 :: v_dual_mov_b32 v49, v21
	v_mov_b32_e32 v28, v27
	s_mov_b32 s94, 0
	s_mov_b64 s[8:9], s[28:29]
	s_delay_alu instid0(VALU_DEP_2)
	v_dual_mov_b32 v38, v8 :: v_dual_mov_b32 v37, v7
	v_dual_mov_b32 v52, v8 :: v_dual_mov_b32 v51, v7
	s_set_inst_prefetch_distance 0x1
	.p2align	6
.LBB23_78:                              ;   Parent Loop BB23_4 Depth=1
                                        ;     Parent Loop BB23_40 Depth=2
                                        ; =>    This Inner Loop Header: Depth=3
	global_load_b64 v[53:54], v[49:50], off
	v_add_nc_u32_e32 v28, -1, v28
	s_waitcnt vmcnt(0)
	v_add_f64 v[53:54], v[53:54], -v[43:44]
	global_store_b64 v[49:50], v[53:54], off
	global_load_b64 v[55:56], v10, s[8:9]
	v_add_co_u32 v49, s7, v49, 8
	s_delay_alu instid0(VALU_DEP_1)
	v_add_co_ci_u32_e64 v50, s7, 0, v50, s7
	s_add_u32 s8, s8, 8
	s_addc_u32 s9, s9, 0
	s_waitcnt vmcnt(0)
	v_div_scale_f64 v[57:58], null, v[53:54], v[53:54], v[55:56]
	v_div_scale_f64 v[67:68], vcc_lo, v[55:56], v[53:54], v[55:56]
	s_delay_alu instid0(VALU_DEP_2) | instskip(SKIP_2) | instid1(VALU_DEP_1)
	v_rcp_f64_e32 v[59:60], v[57:58]
	s_waitcnt_depctr 0xfff
	v_fma_f64 v[65:66], -v[57:58], v[59:60], 1.0
	v_fma_f64 v[59:60], v[59:60], v[65:66], v[59:60]
	s_delay_alu instid0(VALU_DEP_1) | instskip(NEXT) | instid1(VALU_DEP_1)
	v_fma_f64 v[65:66], -v[57:58], v[59:60], 1.0
	v_fma_f64 v[59:60], v[59:60], v[65:66], v[59:60]
	s_delay_alu instid0(VALU_DEP_1) | instskip(NEXT) | instid1(VALU_DEP_1)
	v_mul_f64 v[65:66], v[67:68], v[59:60]
	v_fma_f64 v[57:58], -v[57:58], v[65:66], v[67:68]
	s_delay_alu instid0(VALU_DEP_1) | instskip(SKIP_2) | instid1(VALU_DEP_2)
	v_div_fmas_f64 v[57:58], v[57:58], v[59:60], v[65:66]
	v_cmp_eq_u32_e32 vcc_lo, 0, v28
	s_or_b32 s94, vcc_lo, s94
	v_div_fixup_f64 v[53:54], v[57:58], v[53:54], v[55:56]
	s_delay_alu instid0(VALU_DEP_1) | instskip(SKIP_1) | instid1(VALU_DEP_2)
	v_fma_f64 v[51:52], v[55:56], v[53:54], v[51:52]
	v_fma_f64 v[7:8], v[53:54], v[53:54], v[7:8]
	v_add_f64 v[37:38], v[37:38], v[51:52]
	s_and_not1_b32 exec_lo, exec_lo, s94
	s_cbranch_execnz .LBB23_78
; %bb.79:                               ;   in Loop: Header=BB23_40 Depth=2
	s_set_inst_prefetch_distance 0x2
	s_or_b32 exec_lo, exec_lo, s94
.LBB23_80:                              ;   in Loop: Header=BB23_40 Depth=2
	s_delay_alu instid0(SALU_CYCLE_1) | instskip(NEXT) | instid1(VALU_DEP_1)
	s_or_b32 exec_lo, exec_lo, s93
	v_dual_mov_b32 v53, 0 :: v_dual_and_b32 v38, 0x7fffffff, v38
	v_mov_b32_e32 v54, 0
	s_delay_alu instid0(VALU_DEP_1)
	v_dual_mov_b32 v58, v54 :: v_dual_mov_b32 v57, v53
	s_and_saveexec_b32 s93, s3
	s_cbranch_execz .LBB23_84
; %bb.81:                               ;   in Loop: Header=BB23_40 Depth=2
	v_lshlrev_b64 v[49:50], 3, v[41:42]
	v_mov_b32_e32 v53, 0
	v_mov_b32_e32 v54, 0
	s_mov_b32 s94, 0
	s_mov_b64 s[8:9], s[46:47]
	s_mov_b32 s95, s40
	v_add_co_u32 v49, vcc_lo, s41, v49
	v_add_co_ci_u32_e32 v50, vcc_lo, s89, v50, vcc_lo
	v_dual_mov_b32 v58, v54 :: v_dual_mov_b32 v57, v53
	s_set_inst_prefetch_distance 0x1
	.p2align	6
.LBB23_82:                              ;   Parent Loop BB23_4 Depth=1
                                        ;     Parent Loop BB23_40 Depth=2
                                        ; =>    This Inner Loop Header: Depth=3
	global_load_b64 v[55:56], v[49:50], off
	s_add_i32 s95, s95, -1
	s_waitcnt vmcnt(0)
	v_add_f64 v[55:56], v[55:56], -v[43:44]
	global_store_b64 v[49:50], v[55:56], off
	global_load_b64 v[59:60], v10, s[8:9]
	v_add_co_u32 v49, s7, v49, -8
	s_delay_alu instid0(VALU_DEP_1)
	v_add_co_ci_u32_e64 v50, s7, -1, v50, s7
	s_add_u32 s8, s8, -8
	s_addc_u32 s9, s9, -1
	s_waitcnt vmcnt(0)
	v_div_scale_f64 v[65:66], null, v[55:56], v[55:56], v[59:60]
	v_div_scale_f64 v[71:72], vcc_lo, v[59:60], v[55:56], v[59:60]
	s_delay_alu instid0(VALU_DEP_2) | instskip(SKIP_2) | instid1(VALU_DEP_1)
	v_rcp_f64_e32 v[67:68], v[65:66]
	s_waitcnt_depctr 0xfff
	v_fma_f64 v[69:70], -v[65:66], v[67:68], 1.0
	v_fma_f64 v[67:68], v[67:68], v[69:70], v[67:68]
	s_delay_alu instid0(VALU_DEP_1) | instskip(NEXT) | instid1(VALU_DEP_1)
	v_fma_f64 v[69:70], -v[65:66], v[67:68], 1.0
	v_fma_f64 v[67:68], v[67:68], v[69:70], v[67:68]
	s_delay_alu instid0(VALU_DEP_1) | instskip(NEXT) | instid1(VALU_DEP_1)
	v_mul_f64 v[69:70], v[71:72], v[67:68]
	v_fma_f64 v[65:66], -v[65:66], v[69:70], v[71:72]
	s_delay_alu instid0(VALU_DEP_1) | instskip(SKIP_2) | instid1(VALU_DEP_2)
	v_div_fmas_f64 v[65:66], v[65:66], v[67:68], v[69:70]
	v_cmp_le_i32_e32 vcc_lo, s95, v27
	s_or_b32 s94, vcc_lo, s94
	v_div_fixup_f64 v[55:56], v[65:66], v[55:56], v[59:60]
	s_delay_alu instid0(VALU_DEP_1) | instskip(SKIP_1) | instid1(VALU_DEP_2)
	v_fma_f64 v[57:58], v[59:60], v[55:56], v[57:58]
	v_fma_f64 v[53:54], v[55:56], v[55:56], v[53:54]
	v_add_f64 v[37:38], v[37:38], v[57:58]
	s_and_not1_b32 exec_lo, exec_lo, s94
	s_cbranch_execnz .LBB23_82
; %bb.83:                               ;   in Loop: Header=BB23_40 Depth=2
	s_set_inst_prefetch_distance 0x2
	s_or_b32 exec_lo, exec_lo, s94
.LBB23_84:                              ;   in Loop: Header=BB23_40 Depth=2
	s_delay_alu instid0(SALU_CYCLE_1)
	s_or_b32 exec_lo, exec_lo, s93
	v_add_co_u32 v35, vcc_lo, s28, v35
	v_add_co_ci_u32_e32 v36, vcc_lo, s29, v36, vcc_lo
	s_mov_b32 s93, exec_lo
	global_load_b64 v[49:50], v[33:34], off
	global_load_b64 v[59:60], v[35:36], off
	s_waitcnt vmcnt(0)
	v_div_scale_f64 v[55:56], null, v[49:50], v[49:50], v[59:60]
	v_div_scale_f64 v[69:70], vcc_lo, v[59:60], v[49:50], v[59:60]
	s_delay_alu instid0(VALU_DEP_2) | instskip(SKIP_2) | instid1(VALU_DEP_1)
	v_rcp_f64_e32 v[65:66], v[55:56]
	s_waitcnt_depctr 0xfff
	v_fma_f64 v[67:68], -v[55:56], v[65:66], 1.0
	v_fma_f64 v[65:66], v[65:66], v[67:68], v[65:66]
	s_delay_alu instid0(VALU_DEP_1) | instskip(NEXT) | instid1(VALU_DEP_1)
	v_fma_f64 v[67:68], -v[55:56], v[65:66], 1.0
	v_fma_f64 v[65:66], v[65:66], v[67:68], v[65:66]
	s_delay_alu instid0(VALU_DEP_1) | instskip(NEXT) | instid1(VALU_DEP_1)
	v_mul_f64 v[67:68], v[69:70], v[65:66]
	v_fma_f64 v[55:56], -v[55:56], v[67:68], v[69:70]
	s_delay_alu instid0(VALU_DEP_1) | instskip(SKIP_2) | instid1(VALU_DEP_3)
	v_div_fmas_f64 v[55:56], v[55:56], v[65:66], v[67:68]
	v_add_f64 v[67:68], v[57:58], -v[51:52]
	v_add_f64 v[51:52], v[13:14], v[51:52]
	v_div_fixup_f64 v[65:66], v[55:56], v[49:50], v[59:60]
	v_add_f64 v[55:56], v[7:8], v[53:54]
	s_delay_alu instid0(VALU_DEP_4) | instskip(NEXT) | instid1(VALU_DEP_4)
	v_fma_f64 v[67:68], 0x40200000, v[67:68], v[15:16]
	v_add_f64 v[51:52], v[51:52], v[57:58]
	s_delay_alu instid0(VALU_DEP_4) | instskip(NEXT) | instid1(VALU_DEP_4)
	v_mul_f64 v[7:8], v[59:60], v[65:66]
	v_fma_f64 v[53:54], v[65:66], v[65:66], v[55:56]
	s_delay_alu instid0(VALU_DEP_3) | instskip(NEXT) | instid1(VALU_DEP_3)
	v_fma_f64 v[51:52], v[59:60], v[65:66], v[51:52]
	v_fma_f64 v[7:8], 0x40080000, |v[7:8]|, v[67:68]
	s_delay_alu instid0(VALU_DEP_1) | instskip(NEXT) | instid1(VALU_DEP_1)
	v_fma_f64 v[7:8], |v[43:44]|, v[53:54], v[7:8]
	v_add_f64 v[7:8], v[37:38], v[7:8]
	s_delay_alu instid0(VALU_DEP_1) | instskip(NEXT) | instid1(VALU_DEP_1)
	v_mul_f64 v[7:8], v[7:8], s[30:31]
	v_cmpx_nle_f64_e64 |v[51:52]|, v[7:8]
	s_cbranch_execz .LBB23_168
; %bb.85:                               ;   in Loop: Header=BB23_40 Depth=2
	v_cndmask_b32_e64 v5, 8, 0, s5
	v_add_f64 v[37:38], v[1:2], -v[3:4]
	s_mov_b32 s7, exec_lo
	s_delay_alu instid0(VALU_DEP_2)
	v_add_co_u32 v5, vcc_lo, v25, v5
	v_add_co_ci_u32_e32 v6, vcc_lo, 0, v26, vcc_lo
	global_load_b64 v[57:58], v[5:6], off
	global_load_b128 v[5:8], v[23:24], off
	v_cndmask_b32_e64 v2, v30, v38, s5
	v_cndmask_b32_e64 v1, v29, v37, s5
	s_waitcnt vmcnt(1)
	s_delay_alu instid0(VALU_DEP_1) | instskip(SKIP_3) | instid1(VALU_DEP_3)
	v_mul_f64 v[1:2], v[1:2], v[57:58]
	s_waitcnt vmcnt(0)
	v_cndmask_b32_e64 v4, v8, v6, s5
	v_cndmask_b32_e64 v3, v7, v5, s5
	v_mul_f64 v[1:2], v[57:58], v[1:2]
	s_delay_alu instid0(VALU_DEP_1) | instskip(SKIP_1) | instid1(VALU_DEP_2)
	v_div_scale_f64 v[57:58], null, v[3:4], v[3:4], v[1:2]
	v_div_scale_f64 v[67:68], vcc_lo, v[1:2], v[3:4], v[1:2]
	v_rcp_f64_e32 v[59:60], v[57:58]
	s_waitcnt_depctr 0xfff
	v_fma_f64 v[65:66], -v[57:58], v[59:60], 1.0
	s_delay_alu instid0(VALU_DEP_1) | instskip(NEXT) | instid1(VALU_DEP_1)
	v_fma_f64 v[59:60], v[59:60], v[65:66], v[59:60]
	v_fma_f64 v[65:66], -v[57:58], v[59:60], 1.0
	s_delay_alu instid0(VALU_DEP_1) | instskip(NEXT) | instid1(VALU_DEP_1)
	v_fma_f64 v[59:60], v[59:60], v[65:66], v[59:60]
	v_mul_f64 v[65:66], v[67:68], v[59:60]
	s_delay_alu instid0(VALU_DEP_1) | instskip(NEXT) | instid1(VALU_DEP_1)
	v_fma_f64 v[57:58], -v[57:58], v[65:66], v[67:68]
	v_div_fmas_f64 v[57:58], v[57:58], v[59:60], v[65:66]
	s_delay_alu instid0(VALU_DEP_1) | instskip(NEXT) | instid1(VALU_DEP_1)
	v_div_fixup_f64 v[1:2], v[57:58], v[3:4], v[1:2]
	v_div_scale_f64 v[57:58], null, v[3:4], v[3:4], v[1:2]
	s_delay_alu instid0(VALU_DEP_1) | instskip(SKIP_2) | instid1(VALU_DEP_1)
	v_rcp_f64_e32 v[59:60], v[57:58]
	s_waitcnt_depctr 0xfff
	v_fma_f64 v[65:66], -v[57:58], v[59:60], 1.0
	v_fma_f64 v[59:60], v[59:60], v[65:66], v[59:60]
	s_delay_alu instid0(VALU_DEP_1) | instskip(NEXT) | instid1(VALU_DEP_1)
	v_fma_f64 v[65:66], -v[57:58], v[59:60], 1.0
	v_fma_f64 v[59:60], v[59:60], v[65:66], v[59:60]
	v_div_scale_f64 v[65:66], vcc_lo, v[1:2], v[3:4], v[1:2]
	s_delay_alu instid0(VALU_DEP_1) | instskip(NEXT) | instid1(VALU_DEP_1)
	v_mul_f64 v[67:68], v[65:66], v[59:60]
	v_fma_f64 v[57:58], -v[57:58], v[67:68], v[65:66]
	v_mul_f64 v[65:66], v[5:6], v[7:8]
	s_delay_alu instid0(VALU_DEP_2) | instskip(SKIP_2) | instid1(VALU_DEP_1)
	v_div_fmas_f64 v[57:58], v[57:58], v[59:60], v[67:68]
	v_cndmask_b32_e64 v60, v6, v8, s5
	v_cndmask_b32_e64 v59, v5, v7, s5
	v_fma_f64 v[59:60], -v[53:54], v[59:60], v[51:52]
	s_delay_alu instid0(VALU_DEP_4) | instskip(SKIP_2) | instid1(VALU_DEP_3)
	v_div_fixup_f64 v[1:2], v[57:58], v[3:4], v[1:2]
	v_add_f64 v[3:4], v[5:6], v[7:8]
	v_mul_f64 v[57:58], v[53:54], v[65:66]
	v_add_f64 v[59:60], v[59:60], -v[1:2]
                                        ; implicit-def: $vgpr1_vgpr2
	s_delay_alu instid0(VALU_DEP_2) | instskip(SKIP_1) | instid1(VALU_DEP_3)
	v_fma_f64 v[57:58], v[51:52], v[3:4], -v[57:58]
	v_mul_f64 v[3:4], v[51:52], v[65:66]
	v_cmpx_neq_f64_e32 0, v[59:60]
	s_xor_b32 s8, exec_lo, s7
	s_cbranch_execz .LBB23_91
; %bb.86:                               ;   in Loop: Header=BB23_40 Depth=2
	s_delay_alu instid0(VALU_DEP_2) | instskip(NEXT) | instid1(VALU_DEP_1)
	v_mul_f64 v[1:2], v[3:4], -4.0
	v_mul_f64 v[1:2], v[1:2], v[59:60]
	s_delay_alu instid0(VALU_DEP_1) | instskip(NEXT) | instid1(VALU_DEP_1)
	v_fma_f64 v[1:2], v[57:58], v[57:58], v[1:2]
	v_cmp_gt_f64_e64 s7, 0x10000000, |v[1:2]|
	s_delay_alu instid0(VALU_DEP_1) | instskip(NEXT) | instid1(VALU_DEP_1)
	v_cndmask_b32_e64 v5, 0, 1, s7
	v_lshlrev_b32_e32 v5, 8, v5
	s_delay_alu instid0(VALU_DEP_1) | instskip(NEXT) | instid1(VALU_DEP_1)
	v_ldexp_f64 v[1:2], |v[1:2]|, v5
	v_rsq_f64_e32 v[5:6], v[1:2]
	v_cmp_class_f64_e64 vcc_lo, v[1:2], 0x260
	s_waitcnt_depctr 0xfff
	v_mul_f64 v[7:8], v[1:2], v[5:6]
	v_mul_f64 v[5:6], v[5:6], 0.5
	s_delay_alu instid0(VALU_DEP_1) | instskip(NEXT) | instid1(VALU_DEP_1)
	v_fma_f64 v[55:56], -v[5:6], v[7:8], 0.5
	v_fma_f64 v[7:8], v[7:8], v[55:56], v[7:8]
	v_fma_f64 v[5:6], v[5:6], v[55:56], v[5:6]
	s_delay_alu instid0(VALU_DEP_2) | instskip(NEXT) | instid1(VALU_DEP_1)
	v_fma_f64 v[55:56], -v[7:8], v[7:8], v[1:2]
	v_fma_f64 v[7:8], v[55:56], v[5:6], v[7:8]
	s_delay_alu instid0(VALU_DEP_1) | instskip(NEXT) | instid1(VALU_DEP_1)
	v_fma_f64 v[55:56], -v[7:8], v[7:8], v[1:2]
	v_fma_f64 v[5:6], v[55:56], v[5:6], v[7:8]
	v_cndmask_b32_e64 v7, 0, 0xffffff80, s7
	v_cmp_ge_f64_e64 s7, 0, v[57:58]
	s_delay_alu instid0(VALU_DEP_2) | instskip(NEXT) | instid1(VALU_DEP_1)
	v_ldexp_f64 v[5:6], v[5:6], v7
	v_dual_cndmask_b32 v6, v6, v2 :: v_dual_cndmask_b32 v5, v5, v1
                                        ; implicit-def: $vgpr1_vgpr2
	s_delay_alu instid0(VALU_DEP_3) | instskip(NEXT) | instid1(SALU_CYCLE_1)
	s_and_saveexec_b32 s9, s7
	s_xor_b32 s7, exec_lo, s9
	s_cbranch_execz .LBB23_88
; %bb.87:                               ;   in Loop: Header=BB23_40 Depth=2
	s_delay_alu instid0(VALU_DEP_1) | instskip(SKIP_1) | instid1(VALU_DEP_1)
	v_add_f64 v[1:2], v[57:58], -v[5:6]
	v_add_f64 v[3:4], v[59:60], v[59:60]
	v_div_scale_f64 v[5:6], null, v[3:4], v[3:4], v[1:2]
	s_delay_alu instid0(VALU_DEP_1) | instskip(SKIP_2) | instid1(VALU_DEP_1)
	v_rcp_f64_e32 v[7:8], v[5:6]
	s_waitcnt_depctr 0xfff
	v_fma_f64 v[55:56], -v[5:6], v[7:8], 1.0
	v_fma_f64 v[7:8], v[7:8], v[55:56], v[7:8]
	s_delay_alu instid0(VALU_DEP_1) | instskip(NEXT) | instid1(VALU_DEP_1)
	v_fma_f64 v[55:56], -v[5:6], v[7:8], 1.0
	v_fma_f64 v[7:8], v[7:8], v[55:56], v[7:8]
	v_div_scale_f64 v[55:56], vcc_lo, v[1:2], v[3:4], v[1:2]
	s_delay_alu instid0(VALU_DEP_1) | instskip(NEXT) | instid1(VALU_DEP_1)
	v_mul_f64 v[57:58], v[55:56], v[7:8]
	v_fma_f64 v[5:6], -v[5:6], v[57:58], v[55:56]
	s_delay_alu instid0(VALU_DEP_1) | instskip(NEXT) | instid1(VALU_DEP_1)
	v_div_fmas_f64 v[5:6], v[5:6], v[7:8], v[57:58]
                                        ; implicit-def: $vgpr57_vgpr58
	v_div_fixup_f64 v[1:2], v[5:6], v[3:4], v[1:2]
                                        ; implicit-def: $vgpr3_vgpr4
                                        ; implicit-def: $vgpr5_vgpr6
.LBB23_88:                              ;   in Loop: Header=BB23_40 Depth=2
	s_and_not1_saveexec_b32 s7, s7
	s_cbranch_execz .LBB23_90
; %bb.89:                               ;   in Loop: Header=BB23_40 Depth=2
	v_add_f64 v[1:2], v[3:4], v[3:4]
	v_add_f64 v[3:4], v[57:58], v[5:6]
	s_delay_alu instid0(VALU_DEP_1) | instskip(NEXT) | instid1(VALU_DEP_1)
	v_div_scale_f64 v[5:6], null, v[3:4], v[3:4], v[1:2]
	v_rcp_f64_e32 v[7:8], v[5:6]
	s_waitcnt_depctr 0xfff
	v_fma_f64 v[55:56], -v[5:6], v[7:8], 1.0
	s_delay_alu instid0(VALU_DEP_1) | instskip(NEXT) | instid1(VALU_DEP_1)
	v_fma_f64 v[7:8], v[7:8], v[55:56], v[7:8]
	v_fma_f64 v[55:56], -v[5:6], v[7:8], 1.0
	s_delay_alu instid0(VALU_DEP_1) | instskip(SKIP_1) | instid1(VALU_DEP_1)
	v_fma_f64 v[7:8], v[7:8], v[55:56], v[7:8]
	v_div_scale_f64 v[55:56], vcc_lo, v[1:2], v[3:4], v[1:2]
	v_mul_f64 v[57:58], v[55:56], v[7:8]
	s_delay_alu instid0(VALU_DEP_1) | instskip(NEXT) | instid1(VALU_DEP_1)
	v_fma_f64 v[5:6], -v[5:6], v[57:58], v[55:56]
	v_div_fmas_f64 v[5:6], v[5:6], v[7:8], v[57:58]
	s_delay_alu instid0(VALU_DEP_1)
	v_div_fixup_f64 v[1:2], v[5:6], v[3:4], v[1:2]
.LBB23_90:                              ;   in Loop: Header=BB23_40 Depth=2
	s_or_b32 exec_lo, exec_lo, s7
                                        ; implicit-def: $vgpr57_vgpr58
                                        ; implicit-def: $vgpr3_vgpr4
                                        ; implicit-def: $vgpr7_vgpr8
                                        ; implicit-def: $vgpr55_vgpr56
.LBB23_91:                              ;   in Loop: Header=BB23_40 Depth=2
	s_and_not1_saveexec_b32 s7, s8
	s_cbranch_execz .LBB23_99
; %bb.92:                               ;   in Loop: Header=BB23_40 Depth=2
	s_mov_b32 s8, exec_lo
	s_delay_alu instid0(VALU_DEP_3)
	v_cmpx_eq_f64_e32 0, v[57:58]
	s_cbranch_execz .LBB23_98
; %bb.93:                               ;   in Loop: Header=BB23_40 Depth=2
                                        ; implicit-def: $vgpr57_vgpr58
	s_and_saveexec_b32 s9, s2
	s_delay_alu instid0(SALU_CYCLE_1)
	s_xor_b32 s9, exec_lo, s9
	s_cbranch_execz .LBB23_95
; %bb.94:                               ;   in Loop: Header=BB23_40 Depth=2
	global_load_b64 v[1:2], v[25:26], off offset:8
	v_mul_f64 v[5:6], v[5:6], v[5:6]
                                        ; implicit-def: $vgpr7_vgpr8
	s_waitcnt vmcnt(0)
	v_mul_f64 v[1:2], v[1:2], v[1:2]
	s_delay_alu instid0(VALU_DEP_1)
	v_fma_f64 v[57:58], v[55:56], v[5:6], v[1:2]
                                        ; implicit-def: $vgpr55_vgpr56
.LBB23_95:                              ;   in Loop: Header=BB23_40 Depth=2
	s_and_not1_saveexec_b32 s9, s9
	s_cbranch_execz .LBB23_97
; %bb.96:                               ;   in Loop: Header=BB23_40 Depth=2
	global_load_b64 v[1:2], v[25:26], off
	v_mul_f64 v[5:6], v[7:8], v[7:8]
	s_waitcnt vmcnt(0)
	v_mul_f64 v[1:2], v[1:2], v[1:2]
	s_delay_alu instid0(VALU_DEP_1)
	v_fma_f64 v[57:58], v[55:56], v[5:6], v[1:2]
.LBB23_97:                              ;   in Loop: Header=BB23_40 Depth=2
	s_or_b32 exec_lo, exec_lo, s9
.LBB23_98:                              ;   in Loop: Header=BB23_40 Depth=2
	s_delay_alu instid0(SALU_CYCLE_1) | instskip(NEXT) | instid1(VALU_DEP_1)
	s_or_b32 exec_lo, exec_lo, s8
	v_div_scale_f64 v[1:2], null, v[57:58], v[57:58], v[3:4]
	s_delay_alu instid0(VALU_DEP_1) | instskip(SKIP_2) | instid1(VALU_DEP_1)
	v_rcp_f64_e32 v[5:6], v[1:2]
	s_waitcnt_depctr 0xfff
	v_fma_f64 v[7:8], -v[1:2], v[5:6], 1.0
	v_fma_f64 v[5:6], v[5:6], v[7:8], v[5:6]
	s_delay_alu instid0(VALU_DEP_1) | instskip(NEXT) | instid1(VALU_DEP_1)
	v_fma_f64 v[7:8], -v[1:2], v[5:6], 1.0
	v_fma_f64 v[5:6], v[5:6], v[7:8], v[5:6]
	v_div_scale_f64 v[7:8], vcc_lo, v[3:4], v[57:58], v[3:4]
	s_delay_alu instid0(VALU_DEP_1) | instskip(NEXT) | instid1(VALU_DEP_1)
	v_mul_f64 v[55:56], v[7:8], v[5:6]
	v_fma_f64 v[1:2], -v[1:2], v[55:56], v[7:8]
	s_delay_alu instid0(VALU_DEP_1) | instskip(NEXT) | instid1(VALU_DEP_1)
	v_div_fmas_f64 v[1:2], v[1:2], v[5:6], v[55:56]
	v_div_fixup_f64 v[1:2], v[1:2], v[57:58], v[3:4]
.LBB23_99:                              ;   in Loop: Header=BB23_40 Depth=2
	s_or_b32 exec_lo, exec_lo, s7
	s_delay_alu instid0(VALU_DEP_1) | instskip(SKIP_1) | instid1(VALU_DEP_1)
	v_mul_f64 v[3:4], v[51:52], v[1:2]
	s_mov_b32 s7, exec_lo
	v_cmpx_le_f64_e32 0, v[3:4]
; %bb.100:                              ;   in Loop: Header=BB23_40 Depth=2
	v_div_scale_f64 v[1:2], null, v[53:54], v[53:54], -v[51:52]
	s_delay_alu instid0(VALU_DEP_1) | instskip(SKIP_2) | instid1(VALU_DEP_1)
	v_rcp_f64_e32 v[3:4], v[1:2]
	s_waitcnt_depctr 0xfff
	v_fma_f64 v[5:6], -v[1:2], v[3:4], 1.0
	v_fma_f64 v[3:4], v[3:4], v[5:6], v[3:4]
	s_delay_alu instid0(VALU_DEP_1) | instskip(NEXT) | instid1(VALU_DEP_1)
	v_fma_f64 v[5:6], -v[1:2], v[3:4], 1.0
	v_fma_f64 v[3:4], v[3:4], v[5:6], v[3:4]
	v_div_scale_f64 v[5:6], vcc_lo, -v[51:52], v[53:54], -v[51:52]
	s_delay_alu instid0(VALU_DEP_1) | instskip(NEXT) | instid1(VALU_DEP_1)
	v_mul_f64 v[7:8], v[5:6], v[3:4]
	v_fma_f64 v[1:2], -v[1:2], v[7:8], v[5:6]
	s_delay_alu instid0(VALU_DEP_1) | instskip(NEXT) | instid1(VALU_DEP_1)
	v_div_fmas_f64 v[1:2], v[1:2], v[3:4], v[7:8]
	v_div_fixup_f64 v[1:2], v[1:2], v[53:54], -v[51:52]
; %bb.101:                              ;   in Loop: Header=BB23_40 Depth=2
	s_or_b32 exec_lo, exec_lo, s7
	v_cmp_lt_f64_e32 vcc_lo, v[45:46], v[43:44]
	v_cmp_lt_f64_e64 s7, 0, v[51:52]
	v_cmp_lt_f64_e64 s8, v[43:44], v[47:48]
	s_delay_alu instid0(VALU_DEP_4) | instskip(SKIP_2) | instid1(VALU_DEP_4)
	v_add_f64 v[3:4], v[43:44], v[1:2]
	v_dual_cndmask_b32 v5, v45, v43 :: v_dual_cndmask_b32 v6, v46, v44
	v_cmp_nge_f64_e32 vcc_lo, 0, v[51:52]
	s_and_b32 s7, s7, s8
	s_delay_alu instid0(SALU_CYCLE_1) | instskip(SKIP_2) | instid1(VALU_DEP_2)
	v_cndmask_b32_e64 v8, v48, v44, s7
	v_cndmask_b32_e64 v7, v47, v43, s7
	v_dual_cndmask_b32 v6, v6, v46 :: v_dual_cndmask_b32 v5, v5, v45
	v_cmp_gt_f64_e32 vcc_lo, v[3:4], v[7:8]
	s_delay_alu instid0(VALU_DEP_2) | instskip(NEXT) | instid1(VALU_DEP_1)
	v_cmp_lt_f64_e64 s7, v[3:4], v[5:6]
	s_or_b32 s8, vcc_lo, s7
	s_delay_alu instid0(SALU_CYCLE_1)
	s_and_saveexec_b32 s7, s8
	s_cbranch_execz .LBB23_107
; %bb.102:                              ;   in Loop: Header=BB23_40 Depth=2
	s_mov_b32 s8, exec_lo
                                        ; implicit-def: $vgpr1_vgpr2
	v_cmpx_ngt_f64_e32 0, v[51:52]
	s_xor_b32 s8, exec_lo, s8
; %bb.103:                              ;   in Loop: Header=BB23_40 Depth=2
	v_add_f64 v[1:2], v[5:6], -v[43:44]
	s_delay_alu instid0(VALU_DEP_1)
	v_mul_f64 v[1:2], v[1:2], 0.5
; %bb.104:                              ;   in Loop: Header=BB23_40 Depth=2
	s_and_not1_saveexec_b32 s8, s8
; %bb.105:                              ;   in Loop: Header=BB23_40 Depth=2
	v_add_f64 v[1:2], v[7:8], -v[43:44]
	s_delay_alu instid0(VALU_DEP_1)
	v_mul_f64 v[1:2], v[1:2], 0.5
; %bb.106:                              ;   in Loop: Header=BB23_40 Depth=2
	s_or_b32 exec_lo, exec_lo, s8
.LBB23_107:                             ;   in Loop: Header=BB23_40 Depth=2
	s_delay_alu instid0(SALU_CYCLE_1) | instskip(NEXT) | instid1(VALU_DEP_1)
	s_or_b32 exec_lo, exec_lo, s7
	v_add_f64 v[47:48], v[49:50], -v[1:2]
	v_mov_b32_e32 v45, 0
	v_mov_b32_e32 v46, 0
	s_delay_alu instid0(VALU_DEP_1)
	v_dual_mov_b32 v3, v45 :: v_dual_mov_b32 v4, v46
	v_dual_mov_b32 v54, v46 :: v_dual_mov_b32 v53, v45
	global_store_b64 v[33:34], v[47:48], off
	s_and_saveexec_b32 s94, s4
	s_cbranch_execz .LBB23_111
; %bb.108:                              ;   in Loop: Header=BB23_40 Depth=2
	v_dual_mov_b32 v45, 0 :: v_dual_mov_b32 v48, v22
	v_dual_mov_b32 v46, 0 :: v_dual_mov_b32 v47, v21
	s_delay_alu instid0(VALU_DEP_2) | instskip(SKIP_1) | instid1(VALU_DEP_2)
	v_dual_mov_b32 v28, v27 :: v_dual_mov_b32 v3, v45
	s_mov_b32 s95, 0
	v_mov_b32_e32 v54, v46
	v_dual_mov_b32 v4, v46 :: v_dual_mov_b32 v53, v45
	s_mov_b64 s[8:9], s[28:29]
	s_set_inst_prefetch_distance 0x1
	.p2align	6
.LBB23_109:                             ;   Parent Loop BB23_4 Depth=1
                                        ;     Parent Loop BB23_40 Depth=2
                                        ; =>    This Inner Loop Header: Depth=3
	global_load_b64 v[49:50], v[47:48], off
	v_add_nc_u32_e32 v28, -1, v28
	s_waitcnt vmcnt(0)
	v_add_f64 v[49:50], v[49:50], -v[1:2]
	global_store_b64 v[47:48], v[49:50], off
	global_load_b64 v[55:56], v10, s[8:9]
	v_add_co_u32 v47, s7, v47, 8
	s_delay_alu instid0(VALU_DEP_1)
	v_add_co_ci_u32_e64 v48, s7, 0, v48, s7
	s_add_u32 s8, s8, 8
	s_addc_u32 s9, s9, 0
	s_waitcnt vmcnt(0)
	v_div_scale_f64 v[57:58], null, v[49:50], v[49:50], v[55:56]
	v_div_scale_f64 v[67:68], vcc_lo, v[55:56], v[49:50], v[55:56]
	s_delay_alu instid0(VALU_DEP_2) | instskip(SKIP_2) | instid1(VALU_DEP_1)
	v_rcp_f64_e32 v[59:60], v[57:58]
	s_waitcnt_depctr 0xfff
	v_fma_f64 v[65:66], -v[57:58], v[59:60], 1.0
	v_fma_f64 v[59:60], v[59:60], v[65:66], v[59:60]
	s_delay_alu instid0(VALU_DEP_1) | instskip(NEXT) | instid1(VALU_DEP_1)
	v_fma_f64 v[65:66], -v[57:58], v[59:60], 1.0
	v_fma_f64 v[59:60], v[59:60], v[65:66], v[59:60]
	s_delay_alu instid0(VALU_DEP_1) | instskip(NEXT) | instid1(VALU_DEP_1)
	v_mul_f64 v[65:66], v[67:68], v[59:60]
	v_fma_f64 v[57:58], -v[57:58], v[65:66], v[67:68]
	s_delay_alu instid0(VALU_DEP_1) | instskip(SKIP_2) | instid1(VALU_DEP_2)
	v_div_fmas_f64 v[57:58], v[57:58], v[59:60], v[65:66]
	v_cmp_eq_u32_e32 vcc_lo, 0, v28
	s_or_b32 s95, vcc_lo, s95
	v_div_fixup_f64 v[49:50], v[57:58], v[49:50], v[55:56]
	s_delay_alu instid0(VALU_DEP_1) | instskip(SKIP_1) | instid1(VALU_DEP_2)
	v_fma_f64 v[53:54], v[55:56], v[49:50], v[53:54]
	v_fma_f64 v[45:46], v[49:50], v[49:50], v[45:46]
	v_add_f64 v[3:4], v[3:4], v[53:54]
	s_and_not1_b32 exec_lo, exec_lo, s95
	s_cbranch_execnz .LBB23_109
; %bb.110:                              ;   in Loop: Header=BB23_40 Depth=2
	s_set_inst_prefetch_distance 0x2
	s_or_b32 exec_lo, exec_lo, s95
.LBB23_111:                             ;   in Loop: Header=BB23_40 Depth=2
	s_delay_alu instid0(SALU_CYCLE_1) | instskip(NEXT) | instid1(VALU_DEP_1)
	s_or_b32 exec_lo, exec_lo, s94
	v_and_b32_e32 v4, 0x7fffffff, v4
                                        ; implicit-def: $sgpr8_sgpr9
	s_and_saveexec_b32 s7, s6
	s_delay_alu instid0(SALU_CYCLE_1)
	s_xor_b32 s6, exec_lo, s7
; %bb.112:                              ;   in Loop: Header=BB23_40 Depth=2
	v_lshlrev_b64 v[39:40], 3, v[41:42]
	s_mov_b64 s[8:9], 0
; %bb.113:                              ;   in Loop: Header=BB23_40 Depth=2
	s_or_saveexec_b32 s7, s6
	v_dual_mov_b32 v50, s9 :: v_dual_mov_b32 v49, s8
	v_dual_mov_b32 v42, s9 :: v_dual_mov_b32 v41, s8
	s_xor_b32 exec_lo, exec_lo, s7
	s_cbranch_execz .LBB23_117
; %bb.114:                              ;   in Loop: Header=BB23_40 Depth=2
	v_mov_b32_e32 v49, 0
	v_mov_b32_e32 v50, 0
	v_add_co_u32 v47, vcc_lo, s41, v39
	v_add_co_ci_u32_e32 v48, vcc_lo, s89, v40, vcc_lo
	s_delay_alu instid0(VALU_DEP_3)
	v_dual_mov_b32 v41, v49 :: v_dual_mov_b32 v42, v50
	s_mov_b32 s94, 0
	s_mov_b64 s[8:9], s[46:47]
	s_mov_b32 s95, s40
	s_set_inst_prefetch_distance 0x1
	.p2align	6
.LBB23_115:                             ;   Parent Loop BB23_4 Depth=1
                                        ;     Parent Loop BB23_40 Depth=2
                                        ; =>    This Inner Loop Header: Depth=3
	global_load_b64 v[55:56], v[47:48], off
	s_add_i32 s95, s95, -1
	s_waitcnt vmcnt(0)
	v_add_f64 v[55:56], v[55:56], -v[1:2]
	global_store_b64 v[47:48], v[55:56], off
	global_load_b64 v[57:58], v10, s[8:9]
	v_add_co_u32 v47, s6, v47, -8
	s_delay_alu instid0(VALU_DEP_1)
	v_add_co_ci_u32_e64 v48, s6, -1, v48, s6
	s_add_u32 s8, s8, -8
	s_addc_u32 s9, s9, -1
	s_waitcnt vmcnt(0)
	v_div_scale_f64 v[59:60], null, v[55:56], v[55:56], v[57:58]
	v_div_scale_f64 v[69:70], vcc_lo, v[57:58], v[55:56], v[57:58]
	s_delay_alu instid0(VALU_DEP_2) | instskip(SKIP_2) | instid1(VALU_DEP_1)
	v_rcp_f64_e32 v[65:66], v[59:60]
	s_waitcnt_depctr 0xfff
	v_fma_f64 v[67:68], -v[59:60], v[65:66], 1.0
	v_fma_f64 v[65:66], v[65:66], v[67:68], v[65:66]
	s_delay_alu instid0(VALU_DEP_1) | instskip(NEXT) | instid1(VALU_DEP_1)
	v_fma_f64 v[67:68], -v[59:60], v[65:66], 1.0
	v_fma_f64 v[65:66], v[65:66], v[67:68], v[65:66]
	s_delay_alu instid0(VALU_DEP_1) | instskip(NEXT) | instid1(VALU_DEP_1)
	v_mul_f64 v[67:68], v[69:70], v[65:66]
	v_fma_f64 v[59:60], -v[59:60], v[67:68], v[69:70]
	s_delay_alu instid0(VALU_DEP_1) | instskip(SKIP_2) | instid1(VALU_DEP_2)
	v_div_fmas_f64 v[59:60], v[59:60], v[65:66], v[67:68]
	v_cmp_le_i32_e32 vcc_lo, s95, v27
	s_or_b32 s94, vcc_lo, s94
	v_div_fixup_f64 v[55:56], v[59:60], v[55:56], v[57:58]
	s_delay_alu instid0(VALU_DEP_1) | instskip(SKIP_1) | instid1(VALU_DEP_2)
	v_fma_f64 v[41:42], v[57:58], v[55:56], v[41:42]
	v_fma_f64 v[49:50], v[55:56], v[55:56], v[49:50]
	v_add_f64 v[3:4], v[3:4], v[41:42]
	s_and_not1_b32 exec_lo, exec_lo, s94
	s_cbranch_execnz .LBB23_115
; %bb.116:                              ;   in Loop: Header=BB23_40 Depth=2
	s_set_inst_prefetch_distance 0x2
	s_or_b32 exec_lo, exec_lo, s94
.LBB23_117:                             ;   in Loop: Header=BB23_40 Depth=2
	s_delay_alu instid0(SALU_CYCLE_1)
	s_or_b32 exec_lo, exec_lo, s7
	global_load_b64 v[57:58], v[35:36], off
	global_load_b64 v[47:48], v[33:34], off
	v_dual_mov_b32 v67, v51 :: v_dual_and_b32 v68, 0x7fffffff, v52
	s_mov_b32 s9, 1
	s_mov_b32 s8, 0
                                        ; implicit-def: $sgpr94
                                        ; implicit-def: $sgpr96
	s_waitcnt vmcnt(0)
	v_div_scale_f64 v[55:56], null, v[47:48], v[47:48], v[57:58]
	v_div_scale_f64 v[73:74], vcc_lo, v[57:58], v[47:48], v[57:58]
	s_delay_alu instid0(VALU_DEP_2) | instskip(SKIP_2) | instid1(VALU_DEP_1)
	v_rcp_f64_e32 v[59:60], v[55:56]
	s_waitcnt_depctr 0xfff
	v_fma_f64 v[65:66], -v[55:56], v[59:60], 1.0
	v_fma_f64 v[59:60], v[59:60], v[65:66], v[59:60]
	v_div_scale_f64 v[65:66], null, 0x40240000, 0x40240000, v[67:68]
	s_delay_alu instid0(VALU_DEP_2) | instskip(NEXT) | instid1(VALU_DEP_2)
	v_fma_f64 v[69:70], -v[55:56], v[59:60], 1.0
	v_rcp_f64_e32 v[71:72], v[65:66]
	s_delay_alu instid0(VALU_DEP_1) | instskip(SKIP_3) | instid1(VALU_DEP_2)
	v_fma_f64 v[59:60], v[59:60], v[69:70], v[59:60]
	s_waitcnt_depctr 0xfff
	v_fma_f64 v[69:70], -v[65:66], v[71:72], 1.0
	v_mul_f64 v[75:76], v[73:74], v[59:60]
	v_fma_f64 v[69:70], v[71:72], v[69:70], v[71:72]
	s_delay_alu instid0(VALU_DEP_2) | instskip(SKIP_1) | instid1(VALU_DEP_3)
	v_fma_f64 v[55:56], -v[55:56], v[75:76], v[73:74]
	v_add_f64 v[73:74], v[45:46], v[49:50]
	v_fma_f64 v[71:72], -v[65:66], v[69:70], 1.0
	s_delay_alu instid0(VALU_DEP_3) | instskip(SKIP_1) | instid1(VALU_DEP_3)
	v_div_fmas_f64 v[55:56], v[55:56], v[59:60], v[75:76]
	v_div_scale_f64 v[59:60], vcc_lo, v[67:68], 0x40240000, v[67:68]
	v_fma_f64 v[67:68], v[69:70], v[71:72], v[69:70]
	v_add_f64 v[69:70], v[41:42], -v[53:54]
	v_add_f64 v[53:54], v[13:14], v[53:54]
	v_div_fixup_f64 v[55:56], v[55:56], v[47:48], v[57:58]
	s_delay_alu instid0(VALU_DEP_4) | instskip(NEXT) | instid1(VALU_DEP_4)
	v_mul_f64 v[71:72], v[59:60], v[67:68]
	v_fma_f64 v[69:70], 0x40200000, v[69:70], v[15:16]
	s_delay_alu instid0(VALU_DEP_3) | instskip(NEXT) | instid1(VALU_DEP_3)
	v_mul_f64 v[75:76], v[57:58], v[55:56]
	v_fma_f64 v[59:60], -v[65:66], v[71:72], v[59:60]
	v_add_f64 v[65:66], v[53:54], v[41:42]
	v_add_f64 v[41:42], v[43:44], v[1:2]
	v_fma_f64 v[53:54], v[55:56], v[55:56], v[73:74]
	v_fma_f64 v[1:2], 0x40080000, |v[75:76]|, v[69:70]
	v_div_fmas_f64 v[59:60], v[59:60], v[67:68], v[71:72]
	v_fma_f64 v[43:44], v[57:58], v[55:56], v[65:66]
	v_add_co_u32 v39, vcc_lo, s41, v39
	v_add_co_ci_u32_e32 v40, vcc_lo, s89, v40, vcc_lo
	v_fma_f64 v[1:2], |v[41:42]|, v[53:54], v[1:2]
	v_div_fixup_f64 v[51:52], v[59:60], 0x40240000, |v[51:52]|
	v_xor_b32_e32 v28, 0x80000000, v44
	v_cndmask_b32_e64 v57, v43, v43, s5
	s_delay_alu instid0(VALU_DEP_2) | instskip(SKIP_1) | instid1(VALU_DEP_2)
	v_cndmask_b32_e64 v58, v44, v28, s5
	v_add_f64 v[1:2], v[3:4], v[1:2]
	v_cmp_gt_f64_e64 s95, v[57:58], v[51:52]
	s_branch .LBB23_120
.LBB23_118:                             ;   in Loop: Header=BB23_120 Depth=3
	s_or_b32 exec_lo, exec_lo, s98
	global_load_b64 v[57:58], v[35:36], off
	global_load_b64 v[47:48], v[33:34], off
	v_dual_mov_b32 v67, v43 :: v_dual_and_b32 v68, 0x7fffffff, v44
	v_add_f64 v[41:42], v[41:42], v[51:52]
	s_add_i32 s9, s9, 1
	s_delay_alu instid0(VALU_DEP_2) | instskip(SKIP_4) | instid1(VALU_DEP_2)
	v_div_scale_f64 v[69:70], null, 0x40240000, 0x40240000, v[67:68]
	v_div_scale_f64 v[67:68], s5, v[67:68], 0x40240000, v[67:68]
	s_waitcnt vmcnt(0)
	v_div_scale_f64 v[55:56], null, v[47:48], v[47:48], v[57:58]
	v_div_scale_f64 v[75:76], vcc_lo, v[57:58], v[47:48], v[57:58]
	v_rcp_f64_e32 v[59:60], v[55:56]
	s_waitcnt_depctr 0xfff
	v_fma_f64 v[65:66], -v[55:56], v[59:60], 1.0
	s_delay_alu instid0(VALU_DEP_1) | instskip(SKIP_1) | instid1(VALU_DEP_1)
	v_fma_f64 v[59:60], v[59:60], v[65:66], v[59:60]
	v_rcp_f64_e32 v[65:66], v[69:70]
	v_fma_f64 v[71:72], -v[55:56], v[59:60], 1.0
	s_waitcnt_depctr 0xfff
	v_fma_f64 v[73:74], -v[69:70], v[65:66], 1.0
	v_fma_f64 v[59:60], v[59:60], v[71:72], v[59:60]
	s_delay_alu instid0(VALU_DEP_2) | instskip(NEXT) | instid1(VALU_DEP_2)
	v_fma_f64 v[65:66], v[65:66], v[73:74], v[65:66]
	v_mul_f64 v[71:72], v[75:76], v[59:60]
	s_delay_alu instid0(VALU_DEP_2) | instskip(NEXT) | instid1(VALU_DEP_2)
	v_fma_f64 v[73:74], -v[69:70], v[65:66], 1.0
	v_fma_f64 v[55:56], -v[55:56], v[71:72], v[75:76]
	s_delay_alu instid0(VALU_DEP_2) | instskip(NEXT) | instid1(VALU_DEP_2)
	v_fma_f64 v[65:66], v[65:66], v[73:74], v[65:66]
	v_div_fmas_f64 v[55:56], v[55:56], v[59:60], v[71:72]
	v_add_f64 v[59:60], v[13:14], v[3:4]
	v_add_f64 v[3:4], v[53:54], -v[3:4]
	s_delay_alu instid0(VALU_DEP_4) | instskip(SKIP_1) | instid1(VALU_DEP_4)
	v_mul_f64 v[71:72], v[67:68], v[65:66]
	s_mov_b32 vcc_lo, s5
	v_div_fixup_f64 v[55:56], v[55:56], v[47:48], v[57:58]
	s_delay_alu instid0(VALU_DEP_4) | instskip(NEXT) | instid1(VALU_DEP_4)
	v_add_f64 v[53:54], v[59:60], v[53:54]
	v_fma_f64 v[3:4], 0x40200000, v[3:4], v[15:16]
	s_delay_alu instid0(VALU_DEP_4) | instskip(SKIP_3) | instid1(VALU_DEP_4)
	v_fma_f64 v[59:60], -v[69:70], v[71:72], v[67:68]
	v_add_f64 v[67:68], v[45:46], v[49:50]
	v_mul_f64 v[69:70], v[57:58], v[55:56]
	v_fma_f64 v[57:58], v[57:58], v[55:56], v[53:54]
	v_div_fmas_f64 v[59:60], v[59:60], v[65:66], v[71:72]
	s_delay_alu instid0(VALU_DEP_4) | instskip(NEXT) | instid1(VALU_DEP_4)
	v_fma_f64 v[53:54], v[55:56], v[55:56], v[67:68]
	v_fma_f64 v[3:4], 0x40080000, |v[69:70]|, v[3:4]
	s_delay_alu instid0(VALU_DEP_4) | instskip(NEXT) | instid1(VALU_DEP_4)
	v_mul_f64 v[51:52], v[43:44], v[57:58]
	v_div_fixup_f64 v[43:44], v[59:60], 0x40240000, |v[43:44]|
	s_delay_alu instid0(VALU_DEP_3) | instskip(NEXT) | instid1(VALU_DEP_3)
	v_fma_f64 v[3:4], |v[41:42]|, v[53:54], v[3:4]
	v_cmp_lt_f64_e32 vcc_lo, 0, v[51:52]
	s_delay_alu instid0(VALU_DEP_3) | instskip(SKIP_1) | instid1(VALU_DEP_4)
	v_cmp_gt_f64_e64 s5, |v[57:58]|, v[43:44]
	v_dual_mov_b32 v43, v57 :: v_dual_mov_b32 v44, v58
	v_add_f64 v[1:2], v[1:2], v[3:4]
	s_delay_alu instid0(VALU_DEP_3) | instskip(NEXT) | instid1(SALU_CYCLE_1)
	s_and_b32 s5, vcc_lo, s5
	s_xor_b32 s5, s95, s5
	s_cmp_eq_u32 s9, 50
                                        ; implicit-def: $sgpr95
	s_cselect_b32 s6, -1, 0
	s_and_not1_b32 s7, s96, exec_lo
	s_and_b32 s5, s5, exec_lo
	s_and_not1_b32 s94, s94, exec_lo
	s_and_b32 s6, s6, exec_lo
	s_or_b32 s96, s7, s5
	s_or_b32 s94, s94, s6
.LBB23_119:                             ;   in Loop: Header=BB23_120 Depth=3
	s_or_b32 exec_lo, exec_lo, s97
	s_delay_alu instid0(SALU_CYCLE_1) | instskip(NEXT) | instid1(SALU_CYCLE_1)
	s_and_b32 s5, exec_lo, s94
	s_or_b32 s8, s5, s8
	s_delay_alu instid0(VALU_DEP_3) | instskip(SKIP_1) | instid1(SALU_CYCLE_1)
	s_and_not1_b32 s5, s95, exec_lo
	s_and_b32 s6, s96, exec_lo
	s_or_b32 s95, s5, s6
	s_and_not1_b32 exec_lo, exec_lo, s8
	s_cbranch_execz .LBB23_167
.LBB23_120:                             ;   Parent Loop BB23_4 Depth=1
                                        ;     Parent Loop BB23_40 Depth=2
                                        ; =>    This Loop Header: Depth=3
                                        ;         Child Loop BB23_161 Depth 4
                                        ;         Child Loop BB23_165 Depth 4
	s_delay_alu instid0(VALU_DEP_1) | instskip(SKIP_2) | instid1(VALU_DEP_1)
	v_mul_f64 v[1:2], v[1:2], s[30:31]
	s_and_not1_b32 s96, s96, exec_lo
	s_or_b32 s94, s94, exec_lo
	v_cmp_nle_f64_e64 s5, |v[43:44]|, v[1:2]
                                        ; implicit-def: $vgpr1_vgpr2
	s_delay_alu instid0(VALU_DEP_1)
	s_and_saveexec_b32 s97, s5
	s_cbranch_execz .LBB23_119
; %bb.121:                              ;   in Loop: Header=BB23_120 Depth=3
	global_load_b128 v[1:4], v[23:24], off
	s_xor_b32 s6, s95, -1
                                        ; implicit-def: $vgpr59_vgpr60
	s_delay_alu instid0(SALU_CYCLE_1) | instskip(NEXT) | instid1(SALU_CYCLE_1)
	s_and_saveexec_b32 s5, s6
	s_xor_b32 s5, exec_lo, s5
	s_cbranch_execz .LBB23_127
; %bb.122:                              ;   in Loop: Header=BB23_120 Depth=3
	v_mul_f64 v[51:52], v[55:56], v[55:56]
	s_and_saveexec_b32 s7, s2
	s_delay_alu instid0(SALU_CYCLE_1)
	s_xor_b32 s7, exec_lo, s7
; %bb.123:                              ;   in Loop: Header=BB23_120 Depth=3
	s_delay_alu instid0(VALU_DEP_1)
	v_add_f64 v[49:50], v[51:52], v[49:50]
                                        ; implicit-def: $vgpr51_vgpr52
; %bb.124:                              ;   in Loop: Header=BB23_120 Depth=3
	s_and_not1_saveexec_b32 s7, s7
; %bb.125:                              ;   in Loop: Header=BB23_120 Depth=3
	v_add_f64 v[45:46], v[51:52], v[45:46]
; %bb.126:                              ;   in Loop: Header=BB23_120 Depth=3
	s_or_b32 exec_lo, exec_lo, s7
	s_waitcnt vmcnt(0)
	s_delay_alu instid0(VALU_DEP_1) | instskip(NEXT) | instid1(VALU_DEP_1)
	v_fma_f64 v[51:52], -v[1:2], v[45:46], v[43:44]
	v_fma_f64 v[59:60], -v[3:4], v[49:50], v[51:52]
.LBB23_127:                             ;   in Loop: Header=BB23_120 Depth=3
	s_and_not1_saveexec_b32 s5, s5
	s_cbranch_execz .LBB23_133
; %bb.128:                              ;   in Loop: Header=BB23_120 Depth=3
                                        ; implicit-def: $vgpr59_vgpr60
	s_and_saveexec_b32 s7, s2
	s_delay_alu instid0(SALU_CYCLE_1)
	s_xor_b32 s7, exec_lo, s7
	s_cbranch_execz .LBB23_130
; %bb.129:                              ;   in Loop: Header=BB23_120 Depth=3
	global_load_b64 v[51:52], v[25:26], off offset:8
	s_waitcnt vmcnt(0)
	v_mul_f64 v[55:56], v[29:30], v[51:52]
	s_delay_alu instid0(VALU_DEP_1) | instskip(NEXT) | instid1(VALU_DEP_1)
	v_mul_f64 v[51:52], v[51:52], v[55:56]
	v_div_scale_f64 v[55:56], null, v[3:4], v[3:4], v[51:52]
	v_div_scale_f64 v[65:66], vcc_lo, v[51:52], v[3:4], v[51:52]
	s_delay_alu instid0(VALU_DEP_2) | instskip(SKIP_2) | instid1(VALU_DEP_1)
	v_rcp_f64_e32 v[57:58], v[55:56]
	s_waitcnt_depctr 0xfff
	v_fma_f64 v[59:60], -v[55:56], v[57:58], 1.0
	v_fma_f64 v[57:58], v[57:58], v[59:60], v[57:58]
	s_delay_alu instid0(VALU_DEP_1) | instskip(NEXT) | instid1(VALU_DEP_1)
	v_fma_f64 v[59:60], -v[55:56], v[57:58], 1.0
	v_fma_f64 v[57:58], v[57:58], v[59:60], v[57:58]
	s_delay_alu instid0(VALU_DEP_1) | instskip(NEXT) | instid1(VALU_DEP_1)
	v_mul_f64 v[59:60], v[65:66], v[57:58]
	v_fma_f64 v[55:56], -v[55:56], v[59:60], v[65:66]
	s_delay_alu instid0(VALU_DEP_1) | instskip(NEXT) | instid1(VALU_DEP_1)
	v_div_fmas_f64 v[55:56], v[55:56], v[57:58], v[59:60]
	v_div_fixup_f64 v[51:52], v[55:56], v[3:4], v[51:52]
	s_delay_alu instid0(VALU_DEP_1) | instskip(NEXT) | instid1(VALU_DEP_1)
	v_div_scale_f64 v[55:56], null, v[3:4], v[3:4], v[51:52]
	v_rcp_f64_e32 v[57:58], v[55:56]
	s_waitcnt_depctr 0xfff
	v_fma_f64 v[59:60], -v[55:56], v[57:58], 1.0
	s_delay_alu instid0(VALU_DEP_1) | instskip(NEXT) | instid1(VALU_DEP_1)
	v_fma_f64 v[57:58], v[57:58], v[59:60], v[57:58]
	v_fma_f64 v[59:60], -v[55:56], v[57:58], 1.0
	s_delay_alu instid0(VALU_DEP_1) | instskip(SKIP_1) | instid1(VALU_DEP_1)
	v_fma_f64 v[57:58], v[57:58], v[59:60], v[57:58]
	v_div_scale_f64 v[59:60], vcc_lo, v[51:52], v[3:4], v[51:52]
	v_mul_f64 v[65:66], v[59:60], v[57:58]
	s_delay_alu instid0(VALU_DEP_1) | instskip(NEXT) | instid1(VALU_DEP_1)
	v_fma_f64 v[55:56], -v[55:56], v[65:66], v[59:60]
	v_div_fmas_f64 v[55:56], v[55:56], v[57:58], v[65:66]
	v_fma_f64 v[57:58], -v[53:54], v[1:2], v[43:44]
	s_delay_alu instid0(VALU_DEP_2) | instskip(NEXT) | instid1(VALU_DEP_1)
	v_div_fixup_f64 v[51:52], v[55:56], v[3:4], v[51:52]
	v_add_f64 v[59:60], v[57:58], -v[51:52]
.LBB23_130:                             ;   in Loop: Header=BB23_120 Depth=3
	s_and_not1_saveexec_b32 s7, s7
	s_cbranch_execz .LBB23_132
; %bb.131:                              ;   in Loop: Header=BB23_120 Depth=3
	global_load_b64 v[51:52], v[25:26], off
	s_waitcnt vmcnt(0)
	v_mul_f64 v[55:56], v[37:38], v[51:52]
	s_delay_alu instid0(VALU_DEP_1) | instskip(NEXT) | instid1(VALU_DEP_1)
	v_mul_f64 v[51:52], v[51:52], v[55:56]
	v_div_scale_f64 v[55:56], null, v[1:2], v[1:2], v[51:52]
	v_div_scale_f64 v[65:66], vcc_lo, v[51:52], v[1:2], v[51:52]
	s_delay_alu instid0(VALU_DEP_2) | instskip(SKIP_2) | instid1(VALU_DEP_1)
	v_rcp_f64_e32 v[57:58], v[55:56]
	s_waitcnt_depctr 0xfff
	v_fma_f64 v[59:60], -v[55:56], v[57:58], 1.0
	v_fma_f64 v[57:58], v[57:58], v[59:60], v[57:58]
	s_delay_alu instid0(VALU_DEP_1) | instskip(NEXT) | instid1(VALU_DEP_1)
	v_fma_f64 v[59:60], -v[55:56], v[57:58], 1.0
	v_fma_f64 v[57:58], v[57:58], v[59:60], v[57:58]
	s_delay_alu instid0(VALU_DEP_1) | instskip(NEXT) | instid1(VALU_DEP_1)
	v_mul_f64 v[59:60], v[65:66], v[57:58]
	v_fma_f64 v[55:56], -v[55:56], v[59:60], v[65:66]
	s_delay_alu instid0(VALU_DEP_1) | instskip(NEXT) | instid1(VALU_DEP_1)
	v_div_fmas_f64 v[55:56], v[55:56], v[57:58], v[59:60]
	v_div_fixup_f64 v[51:52], v[55:56], v[1:2], v[51:52]
	s_delay_alu instid0(VALU_DEP_1) | instskip(NEXT) | instid1(VALU_DEP_1)
	v_div_scale_f64 v[55:56], null, v[1:2], v[1:2], v[51:52]
	v_rcp_f64_e32 v[57:58], v[55:56]
	s_waitcnt_depctr 0xfff
	v_fma_f64 v[59:60], -v[55:56], v[57:58], 1.0
	s_delay_alu instid0(VALU_DEP_1) | instskip(NEXT) | instid1(VALU_DEP_1)
	v_fma_f64 v[57:58], v[57:58], v[59:60], v[57:58]
	v_fma_f64 v[59:60], -v[55:56], v[57:58], 1.0
	s_delay_alu instid0(VALU_DEP_1) | instskip(SKIP_1) | instid1(VALU_DEP_1)
	v_fma_f64 v[57:58], v[57:58], v[59:60], v[57:58]
	v_div_scale_f64 v[59:60], vcc_lo, v[51:52], v[1:2], v[51:52]
	v_mul_f64 v[65:66], v[59:60], v[57:58]
	s_delay_alu instid0(VALU_DEP_1) | instskip(NEXT) | instid1(VALU_DEP_1)
	v_fma_f64 v[55:56], -v[55:56], v[65:66], v[59:60]
	v_div_fmas_f64 v[55:56], v[55:56], v[57:58], v[65:66]
	v_fma_f64 v[57:58], -v[53:54], v[3:4], v[43:44]
	s_delay_alu instid0(VALU_DEP_2) | instskip(NEXT) | instid1(VALU_DEP_1)
	v_div_fixup_f64 v[51:52], v[55:56], v[1:2], v[51:52]
	v_add_f64 v[59:60], v[57:58], -v[51:52]
.LBB23_132:                             ;   in Loop: Header=BB23_120 Depth=3
	s_or_b32 exec_lo, exec_lo, s7
.LBB23_133:                             ;   in Loop: Header=BB23_120 Depth=3
	s_delay_alu instid0(SALU_CYCLE_1) | instskip(SKIP_4) | instid1(VALU_DEP_2)
	s_or_b32 exec_lo, exec_lo, s5
	s_waitcnt vmcnt(0)
	v_mul_f64 v[51:52], v[1:2], v[3:4]
	v_add_f64 v[57:58], v[1:2], v[3:4]
	s_mov_b32 s5, exec_lo
	v_mul_f64 v[65:66], v[53:54], v[51:52]
	v_mul_f64 v[55:56], v[43:44], v[51:52]
                                        ; implicit-def: $vgpr51_vgpr52
	s_delay_alu instid0(VALU_DEP_2)
	v_fma_f64 v[57:58], v[43:44], v[57:58], -v[65:66]
	v_cmpx_neq_f64_e32 0, v[59:60]
	s_xor_b32 s7, exec_lo, s5
	s_cbranch_execz .LBB23_139
; %bb.134:                              ;   in Loop: Header=BB23_120 Depth=3
	s_delay_alu instid0(VALU_DEP_3) | instskip(NEXT) | instid1(VALU_DEP_1)
	v_mul_f64 v[1:2], v[55:56], -4.0
                                        ; implicit-def: $vgpr51_vgpr52
	v_mul_f64 v[1:2], v[1:2], v[59:60]
	s_delay_alu instid0(VALU_DEP_1) | instskip(NEXT) | instid1(VALU_DEP_1)
	v_fma_f64 v[1:2], v[57:58], v[57:58], v[1:2]
	v_cmp_gt_f64_e64 s5, 0x10000000, |v[1:2]|
	s_delay_alu instid0(VALU_DEP_1) | instskip(SKIP_2) | instid1(VALU_DEP_3)
	v_cndmask_b32_e64 v3, 0, 1, s5
	v_cndmask_b32_e64 v28, 0, 0xffffff80, s5
	v_cmp_ge_f64_e64 s5, 0, v[57:58]
	v_lshlrev_b32_e32 v3, 8, v3
	s_delay_alu instid0(VALU_DEP_1) | instskip(NEXT) | instid1(VALU_DEP_1)
	v_ldexp_f64 v[1:2], |v[1:2]|, v3
	v_rsq_f64_e32 v[3:4], v[1:2]
	v_cmp_class_f64_e64 vcc_lo, v[1:2], 0x260
	s_waitcnt_depctr 0xfff
	v_mul_f64 v[45:46], v[1:2], v[3:4]
	v_mul_f64 v[3:4], v[3:4], 0.5
	s_delay_alu instid0(VALU_DEP_1) | instskip(NEXT) | instid1(VALU_DEP_1)
	v_fma_f64 v[49:50], -v[3:4], v[45:46], 0.5
	v_fma_f64 v[45:46], v[45:46], v[49:50], v[45:46]
	v_fma_f64 v[3:4], v[3:4], v[49:50], v[3:4]
	s_delay_alu instid0(VALU_DEP_2) | instskip(NEXT) | instid1(VALU_DEP_1)
	v_fma_f64 v[49:50], -v[45:46], v[45:46], v[1:2]
	v_fma_f64 v[45:46], v[49:50], v[3:4], v[45:46]
	s_delay_alu instid0(VALU_DEP_1) | instskip(NEXT) | instid1(VALU_DEP_1)
	v_fma_f64 v[49:50], -v[45:46], v[45:46], v[1:2]
	v_fma_f64 v[3:4], v[49:50], v[3:4], v[45:46]
	s_delay_alu instid0(VALU_DEP_1) | instskip(NEXT) | instid1(VALU_DEP_1)
	v_ldexp_f64 v[3:4], v[3:4], v28
	v_dual_cndmask_b32 v2, v4, v2 :: v_dual_cndmask_b32 v1, v3, v1
	s_and_saveexec_b32 s98, s5
	s_delay_alu instid0(SALU_CYCLE_1)
	s_xor_b32 s5, exec_lo, s98
	s_cbranch_execz .LBB23_136
; %bb.135:                              ;   in Loop: Header=BB23_120 Depth=3
	s_delay_alu instid0(VALU_DEP_1) | instskip(SKIP_1) | instid1(VALU_DEP_1)
	v_add_f64 v[1:2], v[57:58], -v[1:2]
	v_add_f64 v[3:4], v[59:60], v[59:60]
                                        ; implicit-def: $vgpr57_vgpr58
	v_div_scale_f64 v[45:46], null, v[3:4], v[3:4], v[1:2]
	s_delay_alu instid0(VALU_DEP_1) | instskip(SKIP_2) | instid1(VALU_DEP_1)
	v_rcp_f64_e32 v[49:50], v[45:46]
	s_waitcnt_depctr 0xfff
	v_fma_f64 v[51:52], -v[45:46], v[49:50], 1.0
	v_fma_f64 v[49:50], v[49:50], v[51:52], v[49:50]
	s_delay_alu instid0(VALU_DEP_1) | instskip(NEXT) | instid1(VALU_DEP_1)
	v_fma_f64 v[51:52], -v[45:46], v[49:50], 1.0
	v_fma_f64 v[49:50], v[49:50], v[51:52], v[49:50]
	v_div_scale_f64 v[51:52], vcc_lo, v[1:2], v[3:4], v[1:2]
	s_delay_alu instid0(VALU_DEP_1) | instskip(NEXT) | instid1(VALU_DEP_1)
	v_mul_f64 v[55:56], v[51:52], v[49:50]
	v_fma_f64 v[45:46], -v[45:46], v[55:56], v[51:52]
	s_delay_alu instid0(VALU_DEP_1) | instskip(NEXT) | instid1(VALU_DEP_1)
	v_div_fmas_f64 v[45:46], v[45:46], v[49:50], v[55:56]
                                        ; implicit-def: $vgpr55_vgpr56
	v_div_fixup_f64 v[51:52], v[45:46], v[3:4], v[1:2]
                                        ; implicit-def: $vgpr1_vgpr2
.LBB23_136:                             ;   in Loop: Header=BB23_120 Depth=3
	s_and_not1_saveexec_b32 s5, s5
	s_cbranch_execz .LBB23_138
; %bb.137:                              ;   in Loop: Header=BB23_120 Depth=3
	v_add_f64 v[3:4], v[55:56], v[55:56]
	v_add_f64 v[1:2], v[57:58], v[1:2]
	s_delay_alu instid0(VALU_DEP_1) | instskip(NEXT) | instid1(VALU_DEP_1)
	v_div_scale_f64 v[45:46], null, v[1:2], v[1:2], v[3:4]
	v_rcp_f64_e32 v[49:50], v[45:46]
	s_waitcnt_depctr 0xfff
	v_fma_f64 v[51:52], -v[45:46], v[49:50], 1.0
	s_delay_alu instid0(VALU_DEP_1) | instskip(NEXT) | instid1(VALU_DEP_1)
	v_fma_f64 v[49:50], v[49:50], v[51:52], v[49:50]
	v_fma_f64 v[51:52], -v[45:46], v[49:50], 1.0
	s_delay_alu instid0(VALU_DEP_1) | instskip(SKIP_1) | instid1(VALU_DEP_1)
	v_fma_f64 v[49:50], v[49:50], v[51:52], v[49:50]
	v_div_scale_f64 v[51:52], vcc_lo, v[3:4], v[1:2], v[3:4]
	v_mul_f64 v[55:56], v[51:52], v[49:50]
	s_delay_alu instid0(VALU_DEP_1) | instskip(NEXT) | instid1(VALU_DEP_1)
	v_fma_f64 v[45:46], -v[45:46], v[55:56], v[51:52]
	v_div_fmas_f64 v[45:46], v[45:46], v[49:50], v[55:56]
	s_delay_alu instid0(VALU_DEP_1)
	v_div_fixup_f64 v[51:52], v[45:46], v[1:2], v[3:4]
.LBB23_138:                             ;   in Loop: Header=BB23_120 Depth=3
	s_or_b32 exec_lo, exec_lo, s5
                                        ; implicit-def: $vgpr57_vgpr58
                                        ; implicit-def: $vgpr55_vgpr56
                                        ; implicit-def: $vgpr1_vgpr2
                                        ; implicit-def: $vgpr49_vgpr50
                                        ; implicit-def: $vgpr45_vgpr46
.LBB23_139:                             ;   in Loop: Header=BB23_120 Depth=3
	s_and_not1_saveexec_b32 s5, s7
	s_cbranch_execz .LBB23_151
; %bb.140:                              ;   in Loop: Header=BB23_120 Depth=3
	s_mov_b32 s7, exec_lo
	s_delay_alu instid0(VALU_DEP_2)
	v_cmpx_eq_f64_e32 0, v[57:58]
	s_cbranch_execz .LBB23_150
; %bb.141:                              ;   in Loop: Header=BB23_120 Depth=3
                                        ; implicit-def: $vgpr57_vgpr58
	s_and_saveexec_b32 s98, s6
	s_delay_alu instid0(SALU_CYCLE_1)
	s_xor_b32 s6, exec_lo, s98
; %bb.142:                              ;   in Loop: Header=BB23_120 Depth=3
	v_mul_f64 v[3:4], v[3:4], v[3:4]
	v_mul_f64 v[1:2], v[1:2], v[1:2]
	s_delay_alu instid0(VALU_DEP_2) | instskip(NEXT) | instid1(VALU_DEP_1)
	v_mul_f64 v[3:4], v[3:4], v[49:50]
                                        ; implicit-def: $vgpr49_vgpr50
	v_fma_f64 v[57:58], v[1:2], v[45:46], v[3:4]
                                        ; implicit-def: $vgpr3_vgpr4
                                        ; implicit-def: $vgpr45_vgpr46
; %bb.143:                              ;   in Loop: Header=BB23_120 Depth=3
	s_and_not1_saveexec_b32 s6, s6
	s_cbranch_execz .LBB23_149
; %bb.144:                              ;   in Loop: Header=BB23_120 Depth=3
	v_add_f64 v[45:46], v[45:46], v[49:50]
                                        ; implicit-def: $vgpr57_vgpr58
	s_and_saveexec_b32 s98, s2
	s_delay_alu instid0(SALU_CYCLE_1)
	s_xor_b32 s98, exec_lo, s98
	s_cbranch_execz .LBB23_146
; %bb.145:                              ;   in Loop: Header=BB23_120 Depth=3
	global_load_b64 v[3:4], v[25:26], off offset:8
	v_mul_f64 v[1:2], v[1:2], v[1:2]
	s_waitcnt vmcnt(0)
	v_mul_f64 v[3:4], v[3:4], v[3:4]
	s_delay_alu instid0(VALU_DEP_1)
	v_fma_f64 v[57:58], v[1:2], v[45:46], v[3:4]
                                        ; implicit-def: $vgpr3_vgpr4
                                        ; implicit-def: $vgpr45_vgpr46
.LBB23_146:                             ;   in Loop: Header=BB23_120 Depth=3
	s_and_not1_saveexec_b32 s98, s98
	s_cbranch_execz .LBB23_148
; %bb.147:                              ;   in Loop: Header=BB23_120 Depth=3
	global_load_b64 v[1:2], v[25:26], off
	v_mul_f64 v[3:4], v[3:4], v[3:4]
	s_waitcnt vmcnt(0)
	v_mul_f64 v[1:2], v[1:2], v[1:2]
	s_delay_alu instid0(VALU_DEP_1)
	v_fma_f64 v[57:58], v[3:4], v[45:46], v[1:2]
.LBB23_148:                             ;   in Loop: Header=BB23_120 Depth=3
	s_or_b32 exec_lo, exec_lo, s98
.LBB23_149:                             ;   in Loop: Header=BB23_120 Depth=3
	s_delay_alu instid0(SALU_CYCLE_1)
	s_or_b32 exec_lo, exec_lo, s6
.LBB23_150:                             ;   in Loop: Header=BB23_120 Depth=3
	s_delay_alu instid0(SALU_CYCLE_1) | instskip(NEXT) | instid1(VALU_DEP_1)
	s_or_b32 exec_lo, exec_lo, s7
	v_div_scale_f64 v[1:2], null, v[57:58], v[57:58], v[55:56]
	s_delay_alu instid0(VALU_DEP_1) | instskip(SKIP_2) | instid1(VALU_DEP_1)
	v_rcp_f64_e32 v[3:4], v[1:2]
	s_waitcnt_depctr 0xfff
	v_fma_f64 v[45:46], -v[1:2], v[3:4], 1.0
	v_fma_f64 v[3:4], v[3:4], v[45:46], v[3:4]
	s_delay_alu instid0(VALU_DEP_1) | instskip(NEXT) | instid1(VALU_DEP_1)
	v_fma_f64 v[45:46], -v[1:2], v[3:4], 1.0
	v_fma_f64 v[3:4], v[3:4], v[45:46], v[3:4]
	v_div_scale_f64 v[45:46], vcc_lo, v[55:56], v[57:58], v[55:56]
	s_delay_alu instid0(VALU_DEP_1) | instskip(NEXT) | instid1(VALU_DEP_1)
	v_mul_f64 v[49:50], v[45:46], v[3:4]
	v_fma_f64 v[1:2], -v[1:2], v[49:50], v[45:46]
	s_delay_alu instid0(VALU_DEP_1) | instskip(NEXT) | instid1(VALU_DEP_1)
	v_div_fmas_f64 v[1:2], v[1:2], v[3:4], v[49:50]
	v_div_fixup_f64 v[51:52], v[1:2], v[57:58], v[55:56]
.LBB23_151:                             ;   in Loop: Header=BB23_120 Depth=3
	s_or_b32 exec_lo, exec_lo, s5
	s_delay_alu instid0(VALU_DEP_1) | instskip(SKIP_1) | instid1(VALU_DEP_1)
	v_mul_f64 v[1:2], v[43:44], v[51:52]
	s_mov_b32 s5, exec_lo
	v_cmpx_le_f64_e32 0, v[1:2]
; %bb.152:                              ;   in Loop: Header=BB23_120 Depth=3
	v_div_scale_f64 v[1:2], null, v[53:54], v[53:54], -v[43:44]
	s_delay_alu instid0(VALU_DEP_1) | instskip(SKIP_2) | instid1(VALU_DEP_1)
	v_rcp_f64_e32 v[3:4], v[1:2]
	s_waitcnt_depctr 0xfff
	v_fma_f64 v[45:46], -v[1:2], v[3:4], 1.0
	v_fma_f64 v[3:4], v[3:4], v[45:46], v[3:4]
	s_delay_alu instid0(VALU_DEP_1) | instskip(NEXT) | instid1(VALU_DEP_1)
	v_fma_f64 v[45:46], -v[1:2], v[3:4], 1.0
	v_fma_f64 v[3:4], v[3:4], v[45:46], v[3:4]
	v_div_scale_f64 v[45:46], vcc_lo, -v[43:44], v[53:54], -v[43:44]
	s_delay_alu instid0(VALU_DEP_1) | instskip(NEXT) | instid1(VALU_DEP_1)
	v_mul_f64 v[49:50], v[45:46], v[3:4]
	v_fma_f64 v[1:2], -v[1:2], v[49:50], v[45:46]
	s_delay_alu instid0(VALU_DEP_1) | instskip(NEXT) | instid1(VALU_DEP_1)
	v_div_fmas_f64 v[1:2], v[1:2], v[3:4], v[49:50]
	v_div_fixup_f64 v[51:52], v[1:2], v[53:54], -v[43:44]
; %bb.153:                              ;   in Loop: Header=BB23_120 Depth=3
	s_or_b32 exec_lo, exec_lo, s5
	v_cmp_lt_f64_e32 vcc_lo, v[5:6], v[41:42]
	v_cmp_lt_f64_e64 s5, 0, v[43:44]
	v_cmp_lt_f64_e64 s6, v[41:42], v[7:8]
	s_delay_alu instid0(VALU_DEP_4) | instskip(SKIP_2) | instid1(VALU_DEP_4)
	v_add_f64 v[1:2], v[41:42], v[51:52]
	v_dual_cndmask_b32 v3, v5, v41 :: v_dual_cndmask_b32 v4, v6, v42
	v_cmp_nge_f64_e32 vcc_lo, 0, v[43:44]
	s_and_b32 s5, s5, s6
	s_delay_alu instid0(SALU_CYCLE_1) | instskip(SKIP_2) | instid1(VALU_DEP_2)
	v_cndmask_b32_e64 v8, v8, v42, s5
	v_cndmask_b32_e64 v7, v7, v41, s5
	v_dual_cndmask_b32 v6, v4, v6 :: v_dual_cndmask_b32 v5, v3, v5
	v_cmp_gt_f64_e32 vcc_lo, v[1:2], v[7:8]
	s_delay_alu instid0(VALU_DEP_2) | instskip(NEXT) | instid1(VALU_DEP_1)
	v_cmp_lt_f64_e64 s5, v[1:2], v[5:6]
	s_or_b32 s6, vcc_lo, s5
	s_delay_alu instid0(SALU_CYCLE_1)
	s_and_saveexec_b32 s5, s6
	s_cbranch_execz .LBB23_159
; %bb.154:                              ;   in Loop: Header=BB23_120 Depth=3
	s_mov_b32 s6, exec_lo
                                        ; implicit-def: $vgpr51_vgpr52
	v_cmpx_ngt_f64_e32 0, v[43:44]
	s_xor_b32 s6, exec_lo, s6
; %bb.155:                              ;   in Loop: Header=BB23_120 Depth=3
	v_add_f64 v[1:2], v[5:6], -v[41:42]
	s_delay_alu instid0(VALU_DEP_1)
	v_mul_f64 v[51:52], v[1:2], 0.5
; %bb.156:                              ;   in Loop: Header=BB23_120 Depth=3
	s_and_not1_saveexec_b32 s6, s6
; %bb.157:                              ;   in Loop: Header=BB23_120 Depth=3
	v_add_f64 v[1:2], v[7:8], -v[41:42]
	s_delay_alu instid0(VALU_DEP_1)
	v_mul_f64 v[51:52], v[1:2], 0.5
; %bb.158:                              ;   in Loop: Header=BB23_120 Depth=3
	s_or_b32 exec_lo, exec_lo, s6
.LBB23_159:                             ;   in Loop: Header=BB23_120 Depth=3
	s_delay_alu instid0(SALU_CYCLE_1) | instskip(NEXT) | instid1(VALU_DEP_1)
	s_or_b32 exec_lo, exec_lo, s5
	v_add_f64 v[47:48], v[47:48], -v[51:52]
	v_mov_b32_e32 v45, 0
	v_mov_b32_e32 v46, 0
	s_delay_alu instid0(VALU_DEP_2) | instskip(NEXT) | instid1(VALU_DEP_2)
	v_mov_b32_e32 v1, v45
	v_dual_mov_b32 v3, v45 :: v_dual_mov_b32 v4, v46
	v_mov_b32_e32 v2, v46
	global_store_b64 v[33:34], v[47:48], off
	s_and_saveexec_b32 s98, s4
	s_cbranch_execz .LBB23_163
; %bb.160:                              ;   in Loop: Header=BB23_120 Depth=3
	v_dual_mov_b32 v45, 0 :: v_dual_mov_b32 v48, v22
	v_dual_mov_b32 v46, 0 :: v_dual_mov_b32 v47, v21
	s_delay_alu instid0(VALU_DEP_2) | instskip(NEXT) | instid1(VALU_DEP_2)
	v_dual_mov_b32 v28, v27 :: v_dual_mov_b32 v1, v45
	v_dual_mov_b32 v3, v45 :: v_dual_mov_b32 v2, v46
	v_mov_b32_e32 v4, v46
	s_mov_b32 s99, 0
	s_mov_b64 s[6:7], s[28:29]
	s_set_inst_prefetch_distance 0x1
	.p2align	6
.LBB23_161:                             ;   Parent Loop BB23_4 Depth=1
                                        ;     Parent Loop BB23_40 Depth=2
                                        ;       Parent Loop BB23_120 Depth=3
                                        ; =>      This Inner Loop Header: Depth=4
	global_load_b64 v[49:50], v[47:48], off
	v_add_nc_u32_e32 v28, -1, v28
	s_waitcnt vmcnt(0)
	v_add_f64 v[49:50], v[49:50], -v[51:52]
	global_store_b64 v[47:48], v[49:50], off
	global_load_b64 v[53:54], v10, s[6:7]
	v_add_co_u32 v47, s5, v47, 8
	s_delay_alu instid0(VALU_DEP_1)
	v_add_co_ci_u32_e64 v48, s5, 0, v48, s5
	s_add_u32 s6, s6, 8
	s_addc_u32 s7, s7, 0
	s_waitcnt vmcnt(0)
	v_div_scale_f64 v[55:56], null, v[49:50], v[49:50], v[53:54]
	v_div_scale_f64 v[65:66], vcc_lo, v[53:54], v[49:50], v[53:54]
	s_delay_alu instid0(VALU_DEP_2) | instskip(SKIP_2) | instid1(VALU_DEP_1)
	v_rcp_f64_e32 v[57:58], v[55:56]
	s_waitcnt_depctr 0xfff
	v_fma_f64 v[59:60], -v[55:56], v[57:58], 1.0
	v_fma_f64 v[57:58], v[57:58], v[59:60], v[57:58]
	s_delay_alu instid0(VALU_DEP_1) | instskip(NEXT) | instid1(VALU_DEP_1)
	v_fma_f64 v[59:60], -v[55:56], v[57:58], 1.0
	v_fma_f64 v[57:58], v[57:58], v[59:60], v[57:58]
	s_delay_alu instid0(VALU_DEP_1) | instskip(NEXT) | instid1(VALU_DEP_1)
	v_mul_f64 v[59:60], v[65:66], v[57:58]
	v_fma_f64 v[55:56], -v[55:56], v[59:60], v[65:66]
	s_delay_alu instid0(VALU_DEP_1) | instskip(SKIP_2) | instid1(VALU_DEP_2)
	v_div_fmas_f64 v[55:56], v[55:56], v[57:58], v[59:60]
	v_cmp_eq_u32_e32 vcc_lo, 0, v28
	s_or_b32 s99, vcc_lo, s99
	v_div_fixup_f64 v[49:50], v[55:56], v[49:50], v[53:54]
	s_delay_alu instid0(VALU_DEP_1) | instskip(SKIP_1) | instid1(VALU_DEP_2)
	v_fma_f64 v[3:4], v[53:54], v[49:50], v[3:4]
	v_fma_f64 v[45:46], v[49:50], v[49:50], v[45:46]
	v_add_f64 v[1:2], v[1:2], v[3:4]
	s_and_not1_b32 exec_lo, exec_lo, s99
	s_cbranch_execnz .LBB23_161
; %bb.162:                              ;   in Loop: Header=BB23_120 Depth=3
	s_set_inst_prefetch_distance 0x2
	s_or_b32 exec_lo, exec_lo, s99
.LBB23_163:                             ;   in Loop: Header=BB23_120 Depth=3
	s_delay_alu instid0(SALU_CYCLE_1) | instskip(NEXT) | instid1(VALU_DEP_1)
	s_or_b32 exec_lo, exec_lo, s98
	v_dual_mov_b32 v49, 0 :: v_dual_and_b32 v2, 0x7fffffff, v2
	v_mov_b32_e32 v50, 0
	s_delay_alu instid0(VALU_DEP_1)
	v_dual_mov_b32 v54, v50 :: v_dual_mov_b32 v53, v49
	s_and_saveexec_b32 s98, s3
	s_cbranch_execz .LBB23_118
; %bb.164:                              ;   in Loop: Header=BB23_120 Depth=3
	v_dual_mov_b32 v49, 0 :: v_dual_mov_b32 v48, v40
	v_dual_mov_b32 v50, 0 :: v_dual_mov_b32 v47, v39
	s_mov_b32 s99, 0
	s_mov_b64 s[6:7], s[46:47]
	s_mov_b32 s100, s40
	s_delay_alu instid0(VALU_DEP_1)
	v_dual_mov_b32 v54, v50 :: v_dual_mov_b32 v53, v49
	s_set_inst_prefetch_distance 0x1
	.p2align	6
.LBB23_165:                             ;   Parent Loop BB23_4 Depth=1
                                        ;     Parent Loop BB23_40 Depth=2
                                        ;       Parent Loop BB23_120 Depth=3
                                        ; =>      This Inner Loop Header: Depth=4
	global_load_b64 v[55:56], v[47:48], off
	s_add_i32 s100, s100, -1
	s_waitcnt vmcnt(0)
	v_add_f64 v[55:56], v[55:56], -v[51:52]
	global_store_b64 v[47:48], v[55:56], off
	global_load_b64 v[57:58], v10, s[6:7]
	v_add_co_u32 v47, s5, v47, -8
	s_delay_alu instid0(VALU_DEP_1)
	v_add_co_ci_u32_e64 v48, s5, -1, v48, s5
	s_add_u32 s6, s6, -8
	s_addc_u32 s7, s7, -1
	s_waitcnt vmcnt(0)
	v_div_scale_f64 v[59:60], null, v[55:56], v[55:56], v[57:58]
	v_div_scale_f64 v[69:70], vcc_lo, v[57:58], v[55:56], v[57:58]
	s_delay_alu instid0(VALU_DEP_2) | instskip(SKIP_2) | instid1(VALU_DEP_1)
	v_rcp_f64_e32 v[65:66], v[59:60]
	s_waitcnt_depctr 0xfff
	v_fma_f64 v[67:68], -v[59:60], v[65:66], 1.0
	v_fma_f64 v[65:66], v[65:66], v[67:68], v[65:66]
	s_delay_alu instid0(VALU_DEP_1) | instskip(NEXT) | instid1(VALU_DEP_1)
	v_fma_f64 v[67:68], -v[59:60], v[65:66], 1.0
	v_fma_f64 v[65:66], v[65:66], v[67:68], v[65:66]
	s_delay_alu instid0(VALU_DEP_1) | instskip(NEXT) | instid1(VALU_DEP_1)
	v_mul_f64 v[67:68], v[69:70], v[65:66]
	v_fma_f64 v[59:60], -v[59:60], v[67:68], v[69:70]
	s_delay_alu instid0(VALU_DEP_1) | instskip(SKIP_2) | instid1(VALU_DEP_2)
	v_div_fmas_f64 v[59:60], v[59:60], v[65:66], v[67:68]
	v_cmp_le_i32_e32 vcc_lo, s100, v27
	s_or_b32 s99, vcc_lo, s99
	v_div_fixup_f64 v[55:56], v[59:60], v[55:56], v[57:58]
	s_delay_alu instid0(VALU_DEP_1) | instskip(SKIP_1) | instid1(VALU_DEP_2)
	v_fma_f64 v[53:54], v[57:58], v[55:56], v[53:54]
	v_fma_f64 v[49:50], v[55:56], v[55:56], v[49:50]
	v_add_f64 v[1:2], v[1:2], v[53:54]
	s_and_not1_b32 exec_lo, exec_lo, s99
	s_cbranch_execnz .LBB23_165
; %bb.166:                              ;   in Loop: Header=BB23_120 Depth=3
	s_set_inst_prefetch_distance 0x2
	s_or_b32 exec_lo, exec_lo, s99
	s_branch .LBB23_118
.LBB23_167:                             ;   in Loop: Header=BB23_40 Depth=2
	s_or_b32 exec_lo, exec_lo, s8
	v_add_f64 v[5:6], v[31:32], v[41:42]
.LBB23_168:                             ;   in Loop: Header=BB23_40 Depth=2
	s_or_b32 exec_lo, exec_lo, s93
                                        ; implicit-def: $vgpr21_vgpr22
	s_and_not1_saveexec_b32 s6, s92
	s_cbranch_execz .LBB23_50
.LBB23_169:                             ;   in Loop: Header=BB23_40 Depth=2
	v_add_co_u32 v5, vcc_lo, v21, s42
	v_add_co_ci_u32_e32 v6, vcc_lo, s43, v22, vcc_lo
	v_mov_b32_e32 v23, 0
	v_mov_b32_e32 v24, 0
	s_and_not1_b32 vcc_lo, exec_lo, s86
	global_load_b128 v[1:4], v[5:6], off offset:-16
	s_waitcnt vmcnt(0)
	v_add_f64 v[25:26], v[17:18], v[3:4]
	s_cbranch_vccnz .LBB23_172
; %bb.170:                              ;   in Loop: Header=BB23_40 Depth=2
	v_mov_b32_e32 v23, 0
	v_dual_mov_b32 v24, 0 :: v_dual_mov_b32 v7, v21
	v_mov_b32_e32 v8, v22
	s_mov_b64 s[2:3], s[28:29]
	s_mov_b32 s4, s85
	s_set_inst_prefetch_distance 0x1
	.p2align	6
.LBB23_171:                             ;   Parent Loop BB23_4 Depth=1
                                        ;     Parent Loop BB23_40 Depth=2
                                        ; =>    This Inner Loop Header: Depth=3
	global_load_b64 v[27:28], v[7:8], off
	global_load_b64 v[29:30], v10, s[2:3]
	s_add_i32 s4, s4, -1
	s_add_u32 s2, s2, 8
	s_addc_u32 s3, s3, 0
	s_cmp_lg_u32 s4, 0
	s_waitcnt vmcnt(1)
	v_add_f64 v[27:28], v[27:28], -v[25:26]
	s_waitcnt vmcnt(0)
	s_delay_alu instid0(VALU_DEP_1) | instskip(SKIP_1) | instid1(VALU_DEP_2)
	v_div_scale_f64 v[31:32], null, v[27:28], v[27:28], v[29:30]
	v_div_scale_f64 v[37:38], vcc_lo, v[29:30], v[27:28], v[29:30]
	v_rcp_f64_e32 v[33:34], v[31:32]
	s_waitcnt_depctr 0xfff
	v_fma_f64 v[35:36], -v[31:32], v[33:34], 1.0
	s_delay_alu instid0(VALU_DEP_1) | instskip(NEXT) | instid1(VALU_DEP_1)
	v_fma_f64 v[33:34], v[33:34], v[35:36], v[33:34]
	v_fma_f64 v[35:36], -v[31:32], v[33:34], 1.0
	s_delay_alu instid0(VALU_DEP_1) | instskip(NEXT) | instid1(VALU_DEP_1)
	v_fma_f64 v[33:34], v[33:34], v[35:36], v[33:34]
	v_mul_f64 v[35:36], v[37:38], v[33:34]
	s_delay_alu instid0(VALU_DEP_1) | instskip(NEXT) | instid1(VALU_DEP_1)
	v_fma_f64 v[31:32], -v[31:32], v[35:36], v[37:38]
	v_div_fmas_f64 v[31:32], v[31:32], v[33:34], v[35:36]
	v_add_co_u32 v7, vcc_lo, v7, 8
	v_add_co_ci_u32_e32 v8, vcc_lo, 0, v8, vcc_lo
	s_delay_alu instid0(VALU_DEP_3) | instskip(NEXT) | instid1(VALU_DEP_1)
	v_div_fixup_f64 v[27:28], v[31:32], v[27:28], v[29:30]
	v_fma_f64 v[23:24], v[29:30], v[27:28], v[23:24]
	s_cbranch_scc1 .LBB23_171
.LBB23_172:                             ;   in Loop: Header=BB23_40 Depth=2
	s_set_inst_prefetch_distance 0x2
	global_load_b128 v[29:32], v10, s[44:45] offset:-16
	v_add_f64 v[25:26], v[1:2], -v[25:26]
	v_dual_mov_b32 v8, v4 :: v_dual_mov_b32 v7, v3
	s_waitcnt vmcnt(0)
	v_mul_f64 v[29:30], v[29:30], v[29:30]
	v_mul_f64 v[31:32], v[31:32], v[31:32]
	s_delay_alu instid0(VALU_DEP_2) | instskip(SKIP_1) | instid1(VALU_DEP_2)
	v_div_scale_f64 v[27:28], null, v[25:26], v[25:26], v[29:30]
	v_div_scale_f64 v[37:38], vcc_lo, v[29:30], v[25:26], v[29:30]
	v_rcp_f64_e32 v[33:34], v[27:28]
	s_waitcnt_depctr 0xfff
	v_fma_f64 v[35:36], -v[27:28], v[33:34], 1.0
	s_delay_alu instid0(VALU_DEP_1) | instskip(NEXT) | instid1(VALU_DEP_1)
	v_fma_f64 v[33:34], v[33:34], v[35:36], v[33:34]
	v_fma_f64 v[35:36], -v[27:28], v[33:34], 1.0
	s_delay_alu instid0(VALU_DEP_1) | instskip(SKIP_1) | instid1(VALU_DEP_2)
	v_fma_f64 v[33:34], v[33:34], v[35:36], v[33:34]
	v_add_f64 v[35:36], v[13:14], v[23:24]
	v_mul_f64 v[39:40], v[37:38], v[33:34]
	s_delay_alu instid0(VALU_DEP_1) | instskip(NEXT) | instid1(VALU_DEP_1)
	v_fma_f64 v[27:28], -v[27:28], v[39:40], v[37:38]
	v_div_fmas_f64 v[23:24], v[27:28], v[33:34], v[39:40]
	s_delay_alu instid0(VALU_DEP_4) | instskip(SKIP_1) | instid1(VALU_DEP_3)
	v_add_f64 v[27:28], v[35:36], 0
	v_add_f64 v[33:34], v[31:32], v[31:32]
	v_div_fixup_f64 v[23:24], v[23:24], v[25:26], v[29:30]
	s_delay_alu instid0(VALU_DEP_2) | instskip(SKIP_1) | instid1(VALU_DEP_3)
	v_mul_f64 v[25:26], v[13:14], v[33:34]
	v_add_f64 v[33:34], v[3:4], -v[1:2]
                                        ; implicit-def: $vgpr1_vgpr2
	v_add_f64 v[23:24], v[27:28], v[23:24]
	s_delay_alu instid0(VALU_DEP_1) | instskip(SKIP_1) | instid1(SALU_CYCLE_1)
	v_cmp_ngt_f64_e32 vcc_lo, v[23:24], v[25:26]
                                        ; implicit-def: $vgpr25_vgpr26
                                        ; implicit-def: $vgpr23_vgpr24
	s_and_saveexec_b32 s2, vcc_lo
	s_xor_b32 s3, exec_lo, s2
	s_cbranch_execz .LBB23_180
; %bb.173:                              ;   in Loop: Header=BB23_40 Depth=2
	s_delay_alu instid0(VALU_DEP_3) | instskip(SKIP_1) | instid1(VALU_DEP_2)
	v_add_f64 v[1:2], v[11:12], v[33:34]
	v_div_scale_f64 v[25:26], null, v[11:12], v[11:12], v[31:32]
	v_div_scale_f64 v[23:24], null, v[1:2], v[1:2], v[29:30]
	s_delay_alu instid0(VALU_DEP_2) | instskip(SKIP_1) | instid1(VALU_DEP_2)
	v_rcp_f64_e32 v[39:40], v[25:26]
	v_div_scale_f64 v[45:46], vcc_lo, v[29:30], v[1:2], v[29:30]
	v_rcp_f64_e32 v[37:38], v[23:24]
	s_waitcnt_depctr 0xfff
	v_fma_f64 v[43:44], -v[25:26], v[39:40], 1.0
	v_fma_f64 v[41:42], -v[23:24], v[37:38], 1.0
	s_delay_alu instid0(VALU_DEP_2) | instskip(NEXT) | instid1(VALU_DEP_2)
	v_fma_f64 v[39:40], v[39:40], v[43:44], v[39:40]
	v_fma_f64 v[37:38], v[37:38], v[41:42], v[37:38]
	s_delay_alu instid0(VALU_DEP_2) | instskip(NEXT) | instid1(VALU_DEP_2)
	v_fma_f64 v[43:44], -v[25:26], v[39:40], 1.0
	v_fma_f64 v[41:42], -v[23:24], v[37:38], 1.0
	s_delay_alu instid0(VALU_DEP_2) | instskip(NEXT) | instid1(VALU_DEP_2)
	v_fma_f64 v[39:40], v[39:40], v[43:44], v[39:40]
	v_fma_f64 v[37:38], v[37:38], v[41:42], v[37:38]
	v_div_scale_f64 v[41:42], s2, v[31:32], v[11:12], v[31:32]
	s_delay_alu instid0(VALU_DEP_2) | instskip(NEXT) | instid1(VALU_DEP_2)
	v_mul_f64 v[43:44], v[45:46], v[37:38]
	v_mul_f64 v[47:48], v[41:42], v[39:40]
	s_delay_alu instid0(VALU_DEP_2) | instskip(NEXT) | instid1(VALU_DEP_2)
	v_fma_f64 v[23:24], -v[23:24], v[43:44], v[45:46]
	v_fma_f64 v[25:26], -v[25:26], v[47:48], v[41:42]
	s_delay_alu instid0(VALU_DEP_2) | instskip(SKIP_1) | instid1(VALU_DEP_2)
	v_div_fmas_f64 v[23:24], v[23:24], v[37:38], v[43:44]
	s_mov_b32 vcc_lo, s2
	v_div_fmas_f64 v[25:26], v[25:26], v[39:40], v[47:48]
	s_delay_alu instid0(VALU_DEP_2) | instskip(NEXT) | instid1(VALU_DEP_2)
	v_div_fixup_f64 v[1:2], v[23:24], v[1:2], v[29:30]
	v_div_fixup_f64 v[23:24], v[25:26], v[11:12], v[31:32]
	s_delay_alu instid0(VALU_DEP_1) | instskip(NEXT) | instid1(VALU_DEP_1)
	v_add_f64 v[1:2], v[1:2], v[23:24]
	v_cmp_nle_f64_e32 vcc_lo, v[35:36], v[1:2]
	v_dual_mov_b32 v1, v11 :: v_dual_mov_b32 v2, v12
	s_and_saveexec_b32 s4, vcc_lo
	s_cbranch_execz .LBB23_179
; %bb.174:                              ;   in Loop: Header=BB23_40 Depth=2
	v_mul_f64 v[23:24], v[33:34], v[31:32]
	v_fma_f64 v[1:2], -v[33:34], v[27:28], v[29:30]
	s_delay_alu instid0(VALU_DEP_2) | instskip(NEXT) | instid1(VALU_DEP_2)
	v_mul_f64 v[29:30], v[23:24], 4.0
	v_add_f64 v[25:26], v[31:32], v[1:2]
	s_delay_alu instid0(VALU_DEP_2) | instskip(NEXT) | instid1(VALU_DEP_2)
	v_mul_f64 v[1:2], v[27:28], v[29:30]
	v_cmp_ngt_f64_e64 s2, 0, v[25:26]
	s_delay_alu instid0(VALU_DEP_2) | instskip(NEXT) | instid1(VALU_DEP_1)
	v_fma_f64 v[1:2], v[25:26], v[25:26], v[1:2]
	v_cmp_gt_f64_e32 vcc_lo, 0x10000000, v[1:2]
	v_cndmask_b32_e64 v29, 0, 1, vcc_lo
	s_delay_alu instid0(VALU_DEP_1) | instskip(NEXT) | instid1(VALU_DEP_1)
	v_lshlrev_b32_e32 v29, 8, v29
	v_ldexp_f64 v[1:2], v[1:2], v29
	s_delay_alu instid0(VALU_DEP_1) | instskip(SKIP_3) | instid1(VALU_DEP_1)
	v_rsq_f64_e32 v[29:30], v[1:2]
	s_waitcnt_depctr 0xfff
	v_mul_f64 v[31:32], v[1:2], v[29:30]
	v_mul_f64 v[29:30], v[29:30], 0.5
	v_fma_f64 v[33:34], -v[29:30], v[31:32], 0.5
	s_delay_alu instid0(VALU_DEP_1) | instskip(SKIP_1) | instid1(VALU_DEP_2)
	v_fma_f64 v[31:32], v[31:32], v[33:34], v[31:32]
	v_fma_f64 v[29:30], v[29:30], v[33:34], v[29:30]
	v_fma_f64 v[33:34], -v[31:32], v[31:32], v[1:2]
	s_delay_alu instid0(VALU_DEP_1) | instskip(NEXT) | instid1(VALU_DEP_1)
	v_fma_f64 v[31:32], v[33:34], v[29:30], v[31:32]
	v_fma_f64 v[33:34], -v[31:32], v[31:32], v[1:2]
	s_delay_alu instid0(VALU_DEP_1) | instskip(SKIP_2) | instid1(VALU_DEP_2)
	v_fma_f64 v[29:30], v[33:34], v[29:30], v[31:32]
	v_cndmask_b32_e64 v31, 0, 0xffffff80, vcc_lo
	v_cmp_class_f64_e64 vcc_lo, v[1:2], 0x260
	v_ldexp_f64 v[29:30], v[29:30], v31
	s_delay_alu instid0(VALU_DEP_1) | instskip(SKIP_1) | instid1(SALU_CYCLE_1)
	v_dual_cndmask_b32 v30, v30, v2 :: v_dual_cndmask_b32 v29, v29, v1
                                        ; implicit-def: $vgpr1_vgpr2
	s_and_saveexec_b32 s5, s2
	s_xor_b32 s2, exec_lo, s5
	s_cbranch_execz .LBB23_176
; %bb.175:                              ;   in Loop: Header=BB23_40 Depth=2
	s_delay_alu instid0(VALU_DEP_1) | instskip(SKIP_1) | instid1(VALU_DEP_1)
	v_add_f64 v[1:2], v[25:26], v[29:30]
	v_add_f64 v[23:24], v[27:28], v[27:28]
	v_div_scale_f64 v[25:26], null, v[23:24], v[23:24], v[1:2]
	s_delay_alu instid0(VALU_DEP_1) | instskip(SKIP_2) | instid1(VALU_DEP_1)
	v_rcp_f64_e32 v[27:28], v[25:26]
	s_waitcnt_depctr 0xfff
	v_fma_f64 v[29:30], -v[25:26], v[27:28], 1.0
	v_fma_f64 v[27:28], v[27:28], v[29:30], v[27:28]
	s_delay_alu instid0(VALU_DEP_1) | instskip(NEXT) | instid1(VALU_DEP_1)
	v_fma_f64 v[29:30], -v[25:26], v[27:28], 1.0
	v_fma_f64 v[27:28], v[27:28], v[29:30], v[27:28]
	v_div_scale_f64 v[29:30], vcc_lo, v[1:2], v[23:24], v[1:2]
	s_delay_alu instid0(VALU_DEP_1) | instskip(NEXT) | instid1(VALU_DEP_1)
	v_mul_f64 v[31:32], v[29:30], v[27:28]
	v_fma_f64 v[25:26], -v[25:26], v[31:32], v[29:30]
                                        ; implicit-def: $vgpr29_vgpr30
	s_delay_alu instid0(VALU_DEP_1) | instskip(NEXT) | instid1(VALU_DEP_1)
	v_div_fmas_f64 v[25:26], v[25:26], v[27:28], v[31:32]
	v_div_fixup_f64 v[1:2], v[25:26], v[23:24], v[1:2]
                                        ; implicit-def: $vgpr23_vgpr24
                                        ; implicit-def: $vgpr25_vgpr26
.LBB23_176:                             ;   in Loop: Header=BB23_40 Depth=2
	s_and_not1_saveexec_b32 s2, s2
	s_cbranch_execz .LBB23_178
; %bb.177:                              ;   in Loop: Header=BB23_40 Depth=2
	v_add_f64 v[1:2], v[23:24], v[23:24]
	v_add_f64 v[23:24], v[29:30], -v[25:26]
	s_delay_alu instid0(VALU_DEP_1) | instskip(NEXT) | instid1(VALU_DEP_1)
	v_div_scale_f64 v[25:26], null, v[23:24], v[23:24], v[1:2]
	v_rcp_f64_e32 v[27:28], v[25:26]
	s_waitcnt_depctr 0xfff
	v_fma_f64 v[29:30], -v[25:26], v[27:28], 1.0
	s_delay_alu instid0(VALU_DEP_1) | instskip(NEXT) | instid1(VALU_DEP_1)
	v_fma_f64 v[27:28], v[27:28], v[29:30], v[27:28]
	v_fma_f64 v[29:30], -v[25:26], v[27:28], 1.0
	s_delay_alu instid0(VALU_DEP_1) | instskip(SKIP_1) | instid1(VALU_DEP_1)
	v_fma_f64 v[27:28], v[27:28], v[29:30], v[27:28]
	v_div_scale_f64 v[29:30], vcc_lo, v[1:2], v[23:24], v[1:2]
	v_mul_f64 v[31:32], v[29:30], v[27:28]
	s_delay_alu instid0(VALU_DEP_1) | instskip(NEXT) | instid1(VALU_DEP_1)
	v_fma_f64 v[25:26], -v[25:26], v[31:32], v[29:30]
	v_div_fmas_f64 v[25:26], v[25:26], v[27:28], v[31:32]
	s_delay_alu instid0(VALU_DEP_1)
	v_div_fixup_f64 v[1:2], v[25:26], v[23:24], v[1:2]
.LBB23_178:                             ;   in Loop: Header=BB23_40 Depth=2
	s_or_b32 exec_lo, exec_lo, s2
.LBB23_179:                             ;   in Loop: Header=BB23_40 Depth=2
	s_delay_alu instid0(SALU_CYCLE_1)
	s_or_b32 exec_lo, exec_lo, s4
	v_dual_mov_b32 v26, v12 :: v_dual_mov_b32 v25, v11
	v_dual_mov_b32 v24, v18 :: v_dual_mov_b32 v23, v17
                                        ; implicit-def: $vgpr33_vgpr34
                                        ; implicit-def: $vgpr27_vgpr28
                                        ; implicit-def: $vgpr29_vgpr30
                                        ; implicit-def: $vgpr31_vgpr32
.LBB23_180:                             ;   in Loop: Header=BB23_40 Depth=2
	s_and_not1_saveexec_b32 s3, s3
	s_cbranch_execz .LBB23_186
; %bb.181:                              ;   in Loop: Header=BB23_40 Depth=2
	s_delay_alu instid0(VALU_DEP_3) | instskip(SKIP_1) | instid1(VALU_DEP_2)
	v_mul_f64 v[25:26], v[33:34], v[31:32]
	v_fma_f64 v[1:2], -v[33:34], v[27:28], v[29:30]
                                        ; implicit-def: $sgpr4_sgpr5
	v_mul_f64 v[23:24], v[25:26], 4.0
	s_delay_alu instid0(VALU_DEP_2) | instskip(NEXT) | instid1(VALU_DEP_2)
	v_add_f64 v[29:30], v[31:32], v[1:2]
	v_mul_f64 v[1:2], v[27:28], v[23:24]
	s_delay_alu instid0(VALU_DEP_2) | instskip(NEXT) | instid1(VALU_DEP_2)
	v_cmp_ngt_f64_e64 s2, 0, v[29:30]
	v_fma_f64 v[1:2], v[29:30], v[29:30], v[1:2]
	s_delay_alu instid0(VALU_DEP_1) | instskip(SKIP_1) | instid1(VALU_DEP_1)
	v_cmp_gt_f64_e32 vcc_lo, 0x10000000, v[1:2]
	v_cndmask_b32_e64 v23, 0, 1, vcc_lo
	v_lshlrev_b32_e32 v23, 8, v23
	s_delay_alu instid0(VALU_DEP_1) | instskip(NEXT) | instid1(VALU_DEP_1)
	v_ldexp_f64 v[1:2], v[1:2], v23
	v_rsq_f64_e32 v[23:24], v[1:2]
	s_waitcnt_depctr 0xfff
	v_mul_f64 v[31:32], v[1:2], v[23:24]
	v_mul_f64 v[23:24], v[23:24], 0.5
	s_delay_alu instid0(VALU_DEP_1) | instskip(NEXT) | instid1(VALU_DEP_1)
	v_fma_f64 v[33:34], -v[23:24], v[31:32], 0.5
	v_fma_f64 v[31:32], v[31:32], v[33:34], v[31:32]
	v_fma_f64 v[23:24], v[23:24], v[33:34], v[23:24]
	s_delay_alu instid0(VALU_DEP_2) | instskip(NEXT) | instid1(VALU_DEP_1)
	v_fma_f64 v[33:34], -v[31:32], v[31:32], v[1:2]
	v_fma_f64 v[31:32], v[33:34], v[23:24], v[31:32]
	s_delay_alu instid0(VALU_DEP_1) | instskip(NEXT) | instid1(VALU_DEP_1)
	v_fma_f64 v[33:34], -v[31:32], v[31:32], v[1:2]
	v_fma_f64 v[23:24], v[33:34], v[23:24], v[31:32]
	v_cndmask_b32_e64 v31, 0, 0xffffff80, vcc_lo
	v_cmp_class_f64_e64 vcc_lo, v[1:2], 0x260
	s_delay_alu instid0(VALU_DEP_2) | instskip(NEXT) | instid1(VALU_DEP_1)
	v_ldexp_f64 v[23:24], v[23:24], v31
	v_dual_cndmask_b32 v32, v24, v2 :: v_dual_cndmask_b32 v31, v23, v1
                                        ; implicit-def: $vgpr1_vgpr2
	s_and_saveexec_b32 s7, s2
	s_delay_alu instid0(SALU_CYCLE_1)
	s_xor_b32 s2, exec_lo, s7
	s_cbranch_execz .LBB23_183
; %bb.182:                              ;   in Loop: Header=BB23_40 Depth=2
	s_delay_alu instid0(VALU_DEP_1) | instskip(SKIP_2) | instid1(VALU_DEP_1)
	v_add_f64 v[1:2], v[29:30], v[31:32]
	v_add_f64 v[23:24], v[27:28], v[27:28]
	s_mov_b64 s[4:5], 0
	v_div_scale_f64 v[25:26], null, v[23:24], v[23:24], v[1:2]
	s_delay_alu instid0(VALU_DEP_1) | instskip(SKIP_2) | instid1(VALU_DEP_1)
	v_rcp_f64_e32 v[27:28], v[25:26]
	s_waitcnt_depctr 0xfff
	v_fma_f64 v[29:30], -v[25:26], v[27:28], 1.0
	v_fma_f64 v[27:28], v[27:28], v[29:30], v[27:28]
	s_delay_alu instid0(VALU_DEP_1) | instskip(NEXT) | instid1(VALU_DEP_1)
	v_fma_f64 v[29:30], -v[25:26], v[27:28], 1.0
	v_fma_f64 v[27:28], v[27:28], v[29:30], v[27:28]
	v_div_scale_f64 v[29:30], vcc_lo, v[1:2], v[23:24], v[1:2]
	s_delay_alu instid0(VALU_DEP_1) | instskip(NEXT) | instid1(VALU_DEP_1)
	v_mul_f64 v[31:32], v[29:30], v[27:28]
	v_fma_f64 v[25:26], -v[25:26], v[31:32], v[29:30]
                                        ; implicit-def: $vgpr29_vgpr30
	s_delay_alu instid0(VALU_DEP_1) | instskip(NEXT) | instid1(VALU_DEP_1)
	v_div_fmas_f64 v[25:26], v[25:26], v[27:28], v[31:32]
                                        ; implicit-def: $vgpr31_vgpr32
	v_div_fixup_f64 v[1:2], v[25:26], v[23:24], v[1:2]
                                        ; implicit-def: $vgpr25_vgpr26
.LBB23_183:                             ;   in Loop: Header=BB23_40 Depth=2
	s_or_saveexec_b32 s2, s2
	v_dual_mov_b32 v24, s5 :: v_dual_mov_b32 v23, s4
	s_xor_b32 exec_lo, exec_lo, s2
	s_cbranch_execz .LBB23_185
; %bb.184:                              ;   in Loop: Header=BB23_40 Depth=2
	v_add_f64 v[1:2], v[25:26], v[25:26]
	v_add_f64 v[23:24], v[31:32], -v[29:30]
	s_delay_alu instid0(VALU_DEP_1) | instskip(NEXT) | instid1(VALU_DEP_1)
	v_div_scale_f64 v[25:26], null, v[23:24], v[23:24], v[1:2]
	v_rcp_f64_e32 v[27:28], v[25:26]
	s_waitcnt_depctr 0xfff
	v_fma_f64 v[29:30], -v[25:26], v[27:28], 1.0
	s_delay_alu instid0(VALU_DEP_1) | instskip(NEXT) | instid1(VALU_DEP_1)
	v_fma_f64 v[27:28], v[27:28], v[29:30], v[27:28]
	v_fma_f64 v[29:30], -v[25:26], v[27:28], 1.0
	s_delay_alu instid0(VALU_DEP_1) | instskip(SKIP_1) | instid1(VALU_DEP_1)
	v_fma_f64 v[27:28], v[27:28], v[29:30], v[27:28]
	v_div_scale_f64 v[29:30], vcc_lo, v[1:2], v[23:24], v[1:2]
	v_mul_f64 v[31:32], v[29:30], v[27:28]
	s_delay_alu instid0(VALU_DEP_1) | instskip(NEXT) | instid1(VALU_DEP_1)
	v_fma_f64 v[25:26], -v[25:26], v[31:32], v[29:30]
	v_div_fmas_f64 v[25:26], v[25:26], v[27:28], v[31:32]
	s_delay_alu instid0(VALU_DEP_1)
	v_div_fixup_f64 v[1:2], v[25:26], v[23:24], v[1:2]
	v_mov_b32_e32 v23, 0
	v_mov_b32_e32 v24, 0
.LBB23_185:                             ;   in Loop: Header=BB23_40 Depth=2
	s_or_b32 exec_lo, exec_lo, s2
	v_dual_mov_b32 v26, v18 :: v_dual_mov_b32 v25, v17
.LBB23_186:                             ;   in Loop: Header=BB23_40 Depth=2
	s_or_b32 exec_lo, exec_lo, s3
	v_dual_mov_b32 v28, v22 :: v_dual_mov_b32 v27, v21
	s_and_not1_b32 vcc_lo, exec_lo, s25
	s_mov_b32 s2, s40
	s_cbranch_vccnz .LBB23_189
.LBB23_187:                             ;   Parent Loop BB23_4 Depth=1
                                        ;     Parent Loop BB23_40 Depth=2
                                        ; =>    This Inner Loop Header: Depth=3
	global_load_b64 v[7:8], v[27:28], off
	s_add_i32 s2, s2, -1
	s_delay_alu instid0(SALU_CYCLE_1)
	s_cmp_eq_u32 s2, 0
	s_waitcnt vmcnt(0)
	v_add_f64 v[7:8], v[7:8], -v[3:4]
	global_store_b64 v[27:28], v[7:8], off
	v_add_co_u32 v27, vcc_lo, v27, 8
	v_add_co_ci_u32_e32 v28, vcc_lo, 0, v28, vcc_lo
	s_cbranch_scc0 .LBB23_187
; %bb.188:                              ;   in Loop: Header=BB23_40 Depth=2
	global_load_b64 v[7:8], v[5:6], off offset:-8
.LBB23_189:                             ;   in Loop: Header=BB23_40 Depth=2
	s_waitcnt vmcnt(0)
	v_add_f64 v[29:30], v[7:8], -v[3:4]
	v_mov_b32_e32 v7, 0
	v_mov_b32_e32 v8, 0
	s_and_not1_b32 vcc_lo, exec_lo, s25
	s_delay_alu instid0(VALU_DEP_1)
	v_dual_mov_b32 v28, v8 :: v_dual_mov_b32 v27, v7
	v_dual_mov_b32 v32, v8 :: v_dual_mov_b32 v31, v7
	global_store_b64 v[5:6], v[29:30], off offset:-8
	s_cbranch_vccnz .LBB23_193
; %bb.190:                              ;   in Loop: Header=BB23_40 Depth=2
	v_dual_mov_b32 v7, 0 :: v_dual_mov_b32 v30, v22
	v_dual_mov_b32 v8, 0 :: v_dual_mov_b32 v29, v21
	s_mov_b64 s[2:3], s[28:29]
	s_mov_b32 s4, s40
	s_delay_alu instid0(VALU_DEP_1)
	v_dual_mov_b32 v28, v8 :: v_dual_mov_b32 v27, v7
	v_dual_mov_b32 v32, v8 :: v_dual_mov_b32 v31, v7
	s_set_inst_prefetch_distance 0x1
	.p2align	6
.LBB23_191:                             ;   Parent Loop BB23_4 Depth=1
                                        ;     Parent Loop BB23_40 Depth=2
                                        ; =>    This Inner Loop Header: Depth=3
	global_load_b64 v[33:34], v[29:30], off
	s_add_i32 s4, s4, -1
	s_waitcnt vmcnt(0)
	v_add_f64 v[33:34], v[33:34], -v[1:2]
	global_store_b64 v[29:30], v[33:34], off
	global_load_b64 v[35:36], v10, s[2:3]
	s_add_u32 s2, s2, 8
	s_addc_u32 s3, s3, 0
	s_cmp_eq_u32 s4, 0
	s_waitcnt vmcnt(0)
	v_div_scale_f64 v[37:38], null, v[33:34], v[33:34], v[35:36]
	v_div_scale_f64 v[43:44], vcc_lo, v[35:36], v[33:34], v[35:36]
	s_delay_alu instid0(VALU_DEP_2) | instskip(SKIP_2) | instid1(VALU_DEP_1)
	v_rcp_f64_e32 v[39:40], v[37:38]
	s_waitcnt_depctr 0xfff
	v_fma_f64 v[41:42], -v[37:38], v[39:40], 1.0
	v_fma_f64 v[39:40], v[39:40], v[41:42], v[39:40]
	s_delay_alu instid0(VALU_DEP_1) | instskip(NEXT) | instid1(VALU_DEP_1)
	v_fma_f64 v[41:42], -v[37:38], v[39:40], 1.0
	v_fma_f64 v[39:40], v[39:40], v[41:42], v[39:40]
	s_delay_alu instid0(VALU_DEP_1) | instskip(NEXT) | instid1(VALU_DEP_1)
	v_mul_f64 v[41:42], v[43:44], v[39:40]
	v_fma_f64 v[37:38], -v[37:38], v[41:42], v[43:44]
	s_delay_alu instid0(VALU_DEP_1) | instskip(SKIP_2) | instid1(VALU_DEP_3)
	v_div_fmas_f64 v[37:38], v[37:38], v[39:40], v[41:42]
	v_add_co_u32 v29, vcc_lo, v29, 8
	v_add_co_ci_u32_e32 v30, vcc_lo, 0, v30, vcc_lo
	v_div_fixup_f64 v[33:34], v[37:38], v[33:34], v[35:36]
	s_delay_alu instid0(VALU_DEP_1) | instskip(SKIP_1) | instid1(VALU_DEP_2)
	v_fma_f64 v[31:32], v[35:36], v[33:34], v[31:32]
	v_fma_f64 v[7:8], v[33:34], v[33:34], v[7:8]
	v_add_f64 v[27:28], v[27:28], v[31:32]
	s_cbranch_scc0 .LBB23_191
; %bb.192:                              ;   in Loop: Header=BB23_40 Depth=2
	s_set_inst_prefetch_distance 0x2
	global_load_b64 v[29:30], v[5:6], off offset:-8
.LBB23_193:                             ;   in Loop: Header=BB23_40 Depth=2
	s_waitcnt vmcnt(0)
	v_add_f64 v[29:30], v[29:30], -v[1:2]
	s_mov_b32 s5, exec_lo
	global_store_b64 v[5:6], v[29:30], off offset:-8
	global_load_b64 v[33:34], v10, s[44:45] offset:-8
	s_waitcnt vmcnt(0)
	v_div_scale_f64 v[35:36], null, v[29:30], v[29:30], v[33:34]
	s_delay_alu instid0(VALU_DEP_1) | instskip(SKIP_2) | instid1(VALU_DEP_1)
	v_rcp_f64_e32 v[37:38], v[35:36]
	s_waitcnt_depctr 0xfff
	v_fma_f64 v[39:40], -v[35:36], v[37:38], 1.0
	v_fma_f64 v[37:38], v[37:38], v[39:40], v[37:38]
	s_delay_alu instid0(VALU_DEP_1) | instskip(NEXT) | instid1(VALU_DEP_1)
	v_fma_f64 v[39:40], -v[35:36], v[37:38], 1.0
	v_fma_f64 v[37:38], v[37:38], v[39:40], v[37:38]
	v_div_scale_f64 v[39:40], vcc_lo, v[33:34], v[29:30], v[33:34]
	s_delay_alu instid0(VALU_DEP_1) | instskip(NEXT) | instid1(VALU_DEP_1)
	v_mul_f64 v[41:42], v[39:40], v[37:38]
	v_fma_f64 v[35:36], -v[35:36], v[41:42], v[39:40]
	s_delay_alu instid0(VALU_DEP_1) | instskip(NEXT) | instid1(VALU_DEP_1)
	v_div_fmas_f64 v[35:36], v[35:36], v[37:38], v[41:42]
	v_div_fixup_f64 v[35:36], v[35:36], v[29:30], v[33:34]
	s_delay_alu instid0(VALU_DEP_1) | instskip(SKIP_1) | instid1(VALU_DEP_2)
	v_fma_f64 v[37:38], v[33:34], v[35:36], 0
	v_fma_f64 v[33:34], v[35:36], v[35:36], v[7:8]
	v_add_f64 v[39:40], v[31:32], v[37:38]
	v_add_f64 v[27:28], |v[27:28]|, v[37:38]
	v_add_f64 v[31:32], v[13:14], v[31:32]
	s_delay_alu instid0(VALU_DEP_3) | instskip(NEXT) | instid1(VALU_DEP_1)
	v_ldexp_f64 v[39:40], -v[39:40], 3
	v_fma_f64 v[39:40], |v[1:2]|, v[33:34], v[39:40]
	s_delay_alu instid0(VALU_DEP_1) | instskip(NEXT) | instid1(VALU_DEP_1)
	v_add_f64 v[39:40], v[39:40], -v[37:38]
	v_add_f64 v[39:40], v[13:14], v[39:40]
	s_delay_alu instid0(VALU_DEP_1) | instskip(SKIP_1) | instid1(VALU_DEP_2)
	v_add_f64 v[39:40], v[27:28], v[39:40]
	v_add_f64 v[27:28], v[31:32], v[37:38]
	v_mul_f64 v[31:32], v[39:40], s[30:31]
	s_delay_alu instid0(VALU_DEP_1)
	v_cmpx_nle_f64_e64 |v[27:28]|, v[31:32]
	s_cbranch_execz .LBB23_235
; %bb.194:                              ;   in Loop: Header=BB23_40 Depth=2
	global_load_b64 v[37:38], v[5:6], off offset:-16
	v_mul_f64 v[31:32], v[35:36], v[35:36]
	v_cmp_lt_f64_e64 s2, 0, v[27:28]
	v_cmp_lt_f64_e64 s3, v[1:2], v[25:26]
	s_mov_b32 s4, exec_lo
	s_waitcnt vmcnt(0)
	v_fma_f64 v[7:8], -v[7:8], v[37:38], v[27:28]
	s_delay_alu instid0(VALU_DEP_1) | instskip(NEXT) | instid1(VALU_DEP_1)
	v_fma_f64 v[7:8], -v[29:30], v[31:32], v[7:8]
                                        ; implicit-def: $vgpr31_vgpr32
	v_cmpx_neq_f64_e32 0, v[7:8]
	s_xor_b32 s7, exec_lo, s4
	s_cbranch_execz .LBB23_200
; %bb.195:                              ;   in Loop: Header=BB23_40 Depth=2
	v_mul_f64 v[31:32], v[29:30], v[37:38]
	v_add_f64 v[37:38], v[29:30], v[37:38]
	s_delay_alu instid0(VALU_DEP_2) | instskip(SKIP_1) | instid1(VALU_DEP_2)
	v_mul_f64 v[35:36], v[27:28], v[31:32]
	v_mul_f64 v[31:32], v[33:34], v[31:32]
	v_mul_f64 v[39:40], v[35:36], -4.0
	s_delay_alu instid0(VALU_DEP_2) | instskip(NEXT) | instid1(VALU_DEP_2)
	v_fma_f64 v[37:38], v[27:28], v[37:38], -v[31:32]
	v_mul_f64 v[31:32], v[39:40], |v[7:8]|
	s_delay_alu instid0(VALU_DEP_1) | instskip(NEXT) | instid1(VALU_DEP_1)
	v_fma_f64 v[31:32], v[37:38], v[37:38], v[31:32]
	v_cmp_gt_f64_e64 s4, 0x10000000, |v[31:32]|
	s_delay_alu instid0(VALU_DEP_1) | instskip(NEXT) | instid1(VALU_DEP_1)
	v_cndmask_b32_e64 v39, 0, 1, s4
	v_lshlrev_b32_e32 v39, 8, v39
	s_delay_alu instid0(VALU_DEP_1) | instskip(NEXT) | instid1(VALU_DEP_1)
	v_ldexp_f64 v[31:32], |v[31:32]|, v39
	v_rsq_f64_e32 v[39:40], v[31:32]
	v_cmp_class_f64_e64 vcc_lo, v[31:32], 0x260
	s_waitcnt_depctr 0xfff
	v_mul_f64 v[41:42], v[31:32], v[39:40]
	v_mul_f64 v[39:40], v[39:40], 0.5
	s_delay_alu instid0(VALU_DEP_1) | instskip(NEXT) | instid1(VALU_DEP_1)
	v_fma_f64 v[43:44], -v[39:40], v[41:42], 0.5
	v_fma_f64 v[41:42], v[41:42], v[43:44], v[41:42]
	v_fma_f64 v[39:40], v[39:40], v[43:44], v[39:40]
	s_delay_alu instid0(VALU_DEP_2) | instskip(NEXT) | instid1(VALU_DEP_1)
	v_fma_f64 v[43:44], -v[41:42], v[41:42], v[31:32]
	v_fma_f64 v[41:42], v[43:44], v[39:40], v[41:42]
	s_delay_alu instid0(VALU_DEP_1) | instskip(NEXT) | instid1(VALU_DEP_1)
	v_fma_f64 v[43:44], -v[41:42], v[41:42], v[31:32]
	v_fma_f64 v[39:40], v[43:44], v[39:40], v[41:42]
	v_cndmask_b32_e64 v41, 0, 0xffffff80, s4
	v_cmp_le_f64_e64 s4, 0, v[37:38]
	s_delay_alu instid0(VALU_DEP_2) | instskip(NEXT) | instid1(VALU_DEP_1)
	v_ldexp_f64 v[39:40], v[39:40], v41
	v_dual_cndmask_b32 v40, v40, v32 :: v_dual_cndmask_b32 v39, v39, v31
                                        ; implicit-def: $vgpr31_vgpr32
	s_delay_alu instid0(VALU_DEP_3) | instskip(NEXT) | instid1(SALU_CYCLE_1)
	s_and_saveexec_b32 s8, s4
	s_xor_b32 s4, exec_lo, s8
	s_cbranch_execz .LBB23_197
; %bb.196:                              ;   in Loop: Header=BB23_40 Depth=2
	s_delay_alu instid0(VALU_DEP_1) | instskip(SKIP_1) | instid1(VALU_DEP_1)
	v_add_f64 v[31:32], v[37:38], v[39:40]
	v_add_f64 v[7:8], |v[7:8]|, |v[7:8]|
	v_div_scale_f64 v[35:36], null, v[7:8], v[7:8], v[31:32]
	s_delay_alu instid0(VALU_DEP_1) | instskip(SKIP_2) | instid1(VALU_DEP_1)
	v_rcp_f64_e32 v[37:38], v[35:36]
	s_waitcnt_depctr 0xfff
	v_fma_f64 v[39:40], -v[35:36], v[37:38], 1.0
	v_fma_f64 v[37:38], v[37:38], v[39:40], v[37:38]
	s_delay_alu instid0(VALU_DEP_1) | instskip(NEXT) | instid1(VALU_DEP_1)
	v_fma_f64 v[39:40], -v[35:36], v[37:38], 1.0
	v_fma_f64 v[37:38], v[37:38], v[39:40], v[37:38]
	v_div_scale_f64 v[39:40], vcc_lo, v[31:32], v[7:8], v[31:32]
	s_delay_alu instid0(VALU_DEP_1) | instskip(NEXT) | instid1(VALU_DEP_1)
	v_mul_f64 v[41:42], v[39:40], v[37:38]
	v_fma_f64 v[35:36], -v[35:36], v[41:42], v[39:40]
                                        ; implicit-def: $vgpr39_vgpr40
	s_delay_alu instid0(VALU_DEP_1) | instskip(NEXT) | instid1(VALU_DEP_1)
	v_div_fmas_f64 v[35:36], v[35:36], v[37:38], v[41:42]
                                        ; implicit-def: $vgpr37_vgpr38
	v_div_fixup_f64 v[31:32], v[35:36], v[7:8], v[31:32]
                                        ; implicit-def: $vgpr35_vgpr36
.LBB23_197:                             ;   in Loop: Header=BB23_40 Depth=2
	s_and_not1_saveexec_b32 s4, s4
	s_cbranch_execz .LBB23_199
; %bb.198:                              ;   in Loop: Header=BB23_40 Depth=2
	v_add_f64 v[7:8], v[35:36], v[35:36]
	v_add_f64 v[31:32], v[37:38], -v[39:40]
	s_delay_alu instid0(VALU_DEP_1) | instskip(NEXT) | instid1(VALU_DEP_1)
	v_div_scale_f64 v[35:36], null, v[31:32], v[31:32], v[7:8]
	v_rcp_f64_e32 v[37:38], v[35:36]
	s_waitcnt_depctr 0xfff
	v_fma_f64 v[39:40], -v[35:36], v[37:38], 1.0
	s_delay_alu instid0(VALU_DEP_1) | instskip(NEXT) | instid1(VALU_DEP_1)
	v_fma_f64 v[37:38], v[37:38], v[39:40], v[37:38]
	v_fma_f64 v[39:40], -v[35:36], v[37:38], 1.0
	s_delay_alu instid0(VALU_DEP_1) | instskip(SKIP_1) | instid1(VALU_DEP_1)
	v_fma_f64 v[37:38], v[37:38], v[39:40], v[37:38]
	v_div_scale_f64 v[39:40], vcc_lo, v[7:8], v[31:32], v[7:8]
	v_mul_f64 v[41:42], v[39:40], v[37:38]
	s_delay_alu instid0(VALU_DEP_1) | instskip(NEXT) | instid1(VALU_DEP_1)
	v_fma_f64 v[35:36], -v[35:36], v[41:42], v[39:40]
	v_div_fmas_f64 v[35:36], v[35:36], v[37:38], v[41:42]
	s_delay_alu instid0(VALU_DEP_1)
	v_div_fixup_f64 v[31:32], v[35:36], v[31:32], v[7:8]
.LBB23_199:                             ;   in Loop: Header=BB23_40 Depth=2
	s_or_b32 exec_lo, exec_lo, s4
.LBB23_200:                             ;   in Loop: Header=BB23_40 Depth=2
	s_or_saveexec_b32 s4, s7
	s_delay_alu instid0(VALU_DEP_4)
	s_and_b32 vcc_lo, s3, s2
	v_dual_cndmask_b32 v8, v26, v2 :: v_dual_cndmask_b32 v7, v25, v1
	s_xor_b32 exec_lo, exec_lo, s4
; %bb.201:                              ;   in Loop: Header=BB23_40 Depth=2
	s_delay_alu instid0(VALU_DEP_1)
	v_add_f64 v[31:32], v[7:8], -v[1:2]
; %bb.202:                              ;   in Loop: Header=BB23_40 Depth=2
	s_or_b32 exec_lo, exec_lo, s4
	s_delay_alu instid0(VALU_DEP_1) | instskip(SKIP_1) | instid1(VALU_DEP_1)
	v_mul_f64 v[25:26], v[27:28], v[31:32]
	s_mov_b32 s2, exec_lo
	v_cmpx_lt_f64_e32 0, v[25:26]
; %bb.203:                              ;   in Loop: Header=BB23_40 Depth=2
	v_div_scale_f64 v[25:26], null, v[33:34], v[33:34], -v[27:28]
	s_delay_alu instid0(VALU_DEP_1) | instskip(SKIP_2) | instid1(VALU_DEP_1)
	v_rcp_f64_e32 v[31:32], v[25:26]
	s_waitcnt_depctr 0xfff
	v_fma_f64 v[35:36], -v[25:26], v[31:32], 1.0
	v_fma_f64 v[31:32], v[31:32], v[35:36], v[31:32]
	s_delay_alu instid0(VALU_DEP_1) | instskip(NEXT) | instid1(VALU_DEP_1)
	v_fma_f64 v[35:36], -v[25:26], v[31:32], 1.0
	v_fma_f64 v[31:32], v[31:32], v[35:36], v[31:32]
	v_div_scale_f64 v[35:36], vcc_lo, -v[27:28], v[33:34], -v[27:28]
	s_delay_alu instid0(VALU_DEP_1) | instskip(NEXT) | instid1(VALU_DEP_1)
	v_mul_f64 v[37:38], v[35:36], v[31:32]
	v_fma_f64 v[25:26], -v[25:26], v[37:38], v[35:36]
	s_delay_alu instid0(VALU_DEP_1) | instskip(NEXT) | instid1(VALU_DEP_1)
	v_div_fmas_f64 v[25:26], v[25:26], v[31:32], v[37:38]
	v_div_fixup_f64 v[31:32], v[25:26], v[33:34], -v[27:28]
; %bb.204:                              ;   in Loop: Header=BB23_40 Depth=2
	s_or_b32 exec_lo, exec_lo, s2
	v_cmp_lt_f64_e32 vcc_lo, v[23:24], v[1:2]
	s_delay_alu instid0(VALU_DEP_2) | instskip(SKIP_2) | instid1(VALU_DEP_2)
	v_add_f64 v[25:26], v[1:2], v[31:32]
	v_dual_cndmask_b32 v33, v23, v1 :: v_dual_cndmask_b32 v34, v24, v2
	v_cmp_nge_f64_e32 vcc_lo, 0, v[27:28]
	v_dual_cndmask_b32 v24, v34, v24 :: v_dual_cndmask_b32 v23, v33, v23
	s_delay_alu instid0(VALU_DEP_4) | instskip(NEXT) | instid1(VALU_DEP_2)
	v_cmp_gt_f64_e32 vcc_lo, v[25:26], v[7:8]
	v_cmp_lt_f64_e64 s2, v[25:26], v[23:24]
	s_delay_alu instid0(VALU_DEP_1) | instskip(NEXT) | instid1(SALU_CYCLE_1)
	s_or_b32 s3, vcc_lo, s2
	s_and_saveexec_b32 s2, s3
	s_cbranch_execz .LBB23_210
; %bb.205:                              ;   in Loop: Header=BB23_40 Depth=2
	s_mov_b32 s3, exec_lo
                                        ; implicit-def: $vgpr31_vgpr32
	v_cmpx_ngt_f64_e32 0, v[27:28]
	s_xor_b32 s3, exec_lo, s3
; %bb.206:                              ;   in Loop: Header=BB23_40 Depth=2
	v_add_f64 v[25:26], v[23:24], -v[1:2]
	s_delay_alu instid0(VALU_DEP_1)
	v_mul_f64 v[31:32], v[25:26], 0.5
; %bb.207:                              ;   in Loop: Header=BB23_40 Depth=2
	s_and_not1_saveexec_b32 s3, s3
; %bb.208:                              ;   in Loop: Header=BB23_40 Depth=2
	v_add_f64 v[25:26], v[7:8], -v[1:2]
	s_delay_alu instid0(VALU_DEP_1)
	v_mul_f64 v[31:32], v[25:26], 0.5
; %bb.209:                              ;   in Loop: Header=BB23_40 Depth=2
	s_or_b32 exec_lo, exec_lo, s3
.LBB23_210:                             ;   in Loop: Header=BB23_40 Depth=2
	s_delay_alu instid0(SALU_CYCLE_1) | instskip(SKIP_3) | instid1(VALU_DEP_1)
	s_or_b32 exec_lo, exec_lo, s2
	v_mov_b32_e32 v27, 0
	v_mov_b32_e32 v28, 0
	s_and_not1_b32 vcc_lo, exec_lo, s25
	v_dual_mov_b32 v34, v28 :: v_dual_mov_b32 v33, v27
	v_dual_mov_b32 v36, v28 :: v_dual_mov_b32 v35, v27
	s_cbranch_vccnz .LBB23_214
; %bb.211:                              ;   in Loop: Header=BB23_40 Depth=2
	v_dual_mov_b32 v27, 0 :: v_dual_mov_b32 v26, v22
	v_dual_mov_b32 v28, 0 :: v_dual_mov_b32 v25, v21
	s_mov_b64 s[2:3], s[28:29]
	s_mov_b32 s4, s40
	s_delay_alu instid0(VALU_DEP_1)
	v_dual_mov_b32 v34, v28 :: v_dual_mov_b32 v33, v27
	v_dual_mov_b32 v36, v28 :: v_dual_mov_b32 v35, v27
	s_set_inst_prefetch_distance 0x1
	.p2align	6
.LBB23_212:                             ;   Parent Loop BB23_4 Depth=1
                                        ;     Parent Loop BB23_40 Depth=2
                                        ; =>    This Inner Loop Header: Depth=3
	global_load_b64 v[29:30], v[25:26], off
	s_add_i32 s4, s4, -1
	s_waitcnt vmcnt(0)
	v_add_f64 v[29:30], v[29:30], -v[31:32]
	global_store_b64 v[25:26], v[29:30], off
	global_load_b64 v[37:38], v10, s[2:3]
	s_add_u32 s2, s2, 8
	s_addc_u32 s3, s3, 0
	s_cmp_eq_u32 s4, 0
	s_waitcnt vmcnt(0)
	v_div_scale_f64 v[39:40], null, v[29:30], v[29:30], v[37:38]
	v_div_scale_f64 v[45:46], vcc_lo, v[37:38], v[29:30], v[37:38]
	s_delay_alu instid0(VALU_DEP_2) | instskip(SKIP_2) | instid1(VALU_DEP_1)
	v_rcp_f64_e32 v[41:42], v[39:40]
	s_waitcnt_depctr 0xfff
	v_fma_f64 v[43:44], -v[39:40], v[41:42], 1.0
	v_fma_f64 v[41:42], v[41:42], v[43:44], v[41:42]
	s_delay_alu instid0(VALU_DEP_1) | instskip(NEXT) | instid1(VALU_DEP_1)
	v_fma_f64 v[43:44], -v[39:40], v[41:42], 1.0
	v_fma_f64 v[41:42], v[41:42], v[43:44], v[41:42]
	s_delay_alu instid0(VALU_DEP_1) | instskip(NEXT) | instid1(VALU_DEP_1)
	v_mul_f64 v[43:44], v[45:46], v[41:42]
	v_fma_f64 v[39:40], -v[39:40], v[43:44], v[45:46]
	s_delay_alu instid0(VALU_DEP_1) | instskip(SKIP_2) | instid1(VALU_DEP_3)
	v_div_fmas_f64 v[39:40], v[39:40], v[41:42], v[43:44]
	v_add_co_u32 v25, vcc_lo, v25, 8
	v_add_co_ci_u32_e32 v26, vcc_lo, 0, v26, vcc_lo
	v_div_fixup_f64 v[29:30], v[39:40], v[29:30], v[37:38]
	s_delay_alu instid0(VALU_DEP_1) | instskip(SKIP_1) | instid1(VALU_DEP_2)
	v_fma_f64 v[35:36], v[37:38], v[29:30], v[35:36]
	v_fma_f64 v[27:28], v[29:30], v[29:30], v[27:28]
	v_add_f64 v[33:34], v[33:34], v[35:36]
	s_cbranch_scc0 .LBB23_212
; %bb.213:                              ;   in Loop: Header=BB23_40 Depth=2
	s_set_inst_prefetch_distance 0x2
	global_load_b64 v[29:30], v[5:6], off offset:-8
.LBB23_214:                             ;   in Loop: Header=BB23_40 Depth=2
	s_waitcnt vmcnt(0)
	v_add_f64 v[25:26], v[29:30], -v[31:32]
	v_add_f64 v[1:2], v[1:2], v[31:32]
	s_mov_b32 s4, exec_lo
	global_store_b64 v[5:6], v[25:26], off offset:-8
	global_load_b64 v[29:30], v10, s[44:45] offset:-8
	s_waitcnt vmcnt(0)
	v_div_scale_f64 v[37:38], null, v[25:26], v[25:26], v[29:30]
	s_delay_alu instid0(VALU_DEP_1) | instskip(SKIP_2) | instid1(VALU_DEP_1)
	v_rcp_f64_e32 v[39:40], v[37:38]
	s_waitcnt_depctr 0xfff
	v_fma_f64 v[41:42], -v[37:38], v[39:40], 1.0
	v_fma_f64 v[39:40], v[39:40], v[41:42], v[39:40]
	s_delay_alu instid0(VALU_DEP_1) | instskip(NEXT) | instid1(VALU_DEP_1)
	v_fma_f64 v[41:42], -v[37:38], v[39:40], 1.0
	v_fma_f64 v[39:40], v[39:40], v[41:42], v[39:40]
	v_div_scale_f64 v[41:42], vcc_lo, v[29:30], v[25:26], v[29:30]
	s_delay_alu instid0(VALU_DEP_1) | instskip(NEXT) | instid1(VALU_DEP_1)
	v_mul_f64 v[43:44], v[41:42], v[39:40]
	v_fma_f64 v[37:38], -v[37:38], v[43:44], v[41:42]
	s_delay_alu instid0(VALU_DEP_1) | instskip(NEXT) | instid1(VALU_DEP_1)
	v_div_fmas_f64 v[37:38], v[37:38], v[39:40], v[43:44]
	v_div_fixup_f64 v[37:38], v[37:38], v[25:26], v[29:30]
	s_delay_alu instid0(VALU_DEP_1) | instskip(SKIP_1) | instid1(VALU_DEP_2)
	v_fma_f64 v[29:30], v[29:30], v[37:38], 0
	v_fma_f64 v[31:32], v[37:38], v[37:38], v[27:28]
	v_add_f64 v[39:40], v[35:36], v[29:30]
	v_add_f64 v[33:34], |v[33:34]|, v[29:30]
	v_add_f64 v[35:36], v[13:14], v[35:36]
	s_delay_alu instid0(VALU_DEP_3) | instskip(NEXT) | instid1(VALU_DEP_1)
	v_ldexp_f64 v[39:40], -v[39:40], 3
	v_fma_f64 v[31:32], |v[1:2]|, v[31:32], v[39:40]
	s_delay_alu instid0(VALU_DEP_1) | instskip(NEXT) | instid1(VALU_DEP_4)
	v_add_f64 v[31:32], v[31:32], -v[29:30]
	v_add_f64 v[29:30], v[35:36], v[29:30]
	s_delay_alu instid0(VALU_DEP_2) | instskip(NEXT) | instid1(VALU_DEP_1)
	v_add_f64 v[31:32], v[13:14], v[31:32]
	v_add_f64 v[31:32], v[33:34], v[31:32]
	s_delay_alu instid0(VALU_DEP_1) | instskip(NEXT) | instid1(VALU_DEP_1)
	v_mul_f64 v[31:32], v[31:32], s[30:31]
	v_cmpx_nle_f64_e64 |v[29:30]|, v[31:32]
	s_cbranch_execz .LBB23_234
; %bb.215:                              ;   in Loop: Header=BB23_40 Depth=2
	v_mul_f64 v[31:32], v[37:38], v[37:38]
	s_mov_b32 s8, 1
	s_mov_b32 s7, 0
	s_branch .LBB23_217
.LBB23_216:                             ;   in Loop: Header=BB23_217 Depth=3
	s_waitcnt vmcnt(0)
	v_add_f64 v[25:26], v[25:26], -v[31:32]
	v_add_f64 v[1:2], v[1:2], v[31:32]
	s_add_i32 s2, s8, 1
	s_cmp_gt_u32 s8, 48
	s_mov_b32 s8, s2
	s_cselect_b32 s3, -1, 0
	global_store_b64 v[5:6], v[25:26], off offset:-8
	global_load_b64 v[35:36], v10, s[44:45] offset:-8
	s_waitcnt vmcnt(0)
	v_div_scale_f64 v[37:38], null, v[25:26], v[25:26], v[35:36]
	s_delay_alu instid0(VALU_DEP_1) | instskip(SKIP_2) | instid1(VALU_DEP_1)
	v_rcp_f64_e32 v[39:40], v[37:38]
	s_waitcnt_depctr 0xfff
	v_fma_f64 v[41:42], -v[37:38], v[39:40], 1.0
	v_fma_f64 v[39:40], v[39:40], v[41:42], v[39:40]
	s_delay_alu instid0(VALU_DEP_1) | instskip(NEXT) | instid1(VALU_DEP_1)
	v_fma_f64 v[41:42], -v[37:38], v[39:40], 1.0
	v_fma_f64 v[39:40], v[39:40], v[41:42], v[39:40]
	v_div_scale_f64 v[41:42], vcc_lo, v[35:36], v[25:26], v[35:36]
	s_delay_alu instid0(VALU_DEP_1) | instskip(NEXT) | instid1(VALU_DEP_1)
	v_mul_f64 v[43:44], v[41:42], v[39:40]
	v_fma_f64 v[37:38], -v[37:38], v[43:44], v[41:42]
	s_delay_alu instid0(VALU_DEP_1) | instskip(NEXT) | instid1(VALU_DEP_1)
	v_div_fmas_f64 v[37:38], v[37:38], v[39:40], v[43:44]
	v_div_fixup_f64 v[37:38], v[37:38], v[25:26], v[35:36]
	s_delay_alu instid0(VALU_DEP_1) | instskip(SKIP_1) | instid1(VALU_DEP_2)
	v_fma_f64 v[35:36], v[35:36], v[37:38], 0
	v_fma_f64 v[31:32], v[37:38], v[37:38], v[27:28]
	v_add_f64 v[39:40], v[33:34], v[35:36]
	v_add_f64 v[29:30], |v[29:30]|, v[35:36]
	v_add_f64 v[33:34], v[13:14], v[33:34]
	s_delay_alu instid0(VALU_DEP_3) | instskip(NEXT) | instid1(VALU_DEP_1)
	v_ldexp_f64 v[39:40], -v[39:40], 3
	v_fma_f64 v[31:32], |v[1:2]|, v[31:32], v[39:40]
	s_delay_alu instid0(VALU_DEP_1) | instskip(NEXT) | instid1(VALU_DEP_1)
	v_add_f64 v[31:32], v[31:32], -v[35:36]
	v_add_f64 v[31:32], v[13:14], v[31:32]
	s_delay_alu instid0(VALU_DEP_1) | instskip(SKIP_1) | instid1(VALU_DEP_2)
	v_add_f64 v[31:32], v[29:30], v[31:32]
	v_add_f64 v[29:30], v[33:34], v[35:36]
	v_mul_f64 v[31:32], v[31:32], s[30:31]
	s_delay_alu instid0(VALU_DEP_2) | instskip(NEXT) | instid1(VALU_DEP_1)
	v_dual_mov_b32 v33, v29 :: v_dual_and_b32 v34, 0x7fffffff, v30
	v_cmp_le_f64_e32 vcc_lo, v[33:34], v[31:32]
	v_mul_f64 v[31:32], v[37:38], v[37:38]
	s_or_b32 s3, s3, vcc_lo
	s_delay_alu instid0(SALU_CYCLE_1) | instskip(NEXT) | instid1(SALU_CYCLE_1)
	s_and_b32 s3, exec_lo, s3
	s_or_b32 s7, s3, s7
	s_delay_alu instid0(SALU_CYCLE_1)
	s_and_not1_b32 exec_lo, exec_lo, s7
	s_cbranch_execz .LBB23_233
.LBB23_217:                             ;   Parent Loop BB23_4 Depth=1
                                        ;     Parent Loop BB23_40 Depth=2
                                        ; =>    This Loop Header: Depth=3
                                        ;         Child Loop BB23_231 Depth 4
	global_load_b64 v[35:36], v[5:6], off offset:-16
	s_waitcnt vmcnt(0)
	v_mul_f64 v[39:40], v[25:26], v[35:36]
	v_fma_f64 v[37:38], -v[27:28], v[35:36], v[29:30]
	v_add_f64 v[27:28], v[31:32], v[27:28]
	v_add_f64 v[35:36], v[25:26], v[35:36]
	s_delay_alu instid0(VALU_DEP_4) | instskip(NEXT) | instid1(VALU_DEP_4)
	v_mul_f64 v[33:34], v[29:30], v[39:40]
	v_fma_f64 v[37:38], -v[25:26], v[31:32], v[37:38]
	s_delay_alu instid0(VALU_DEP_4) | instskip(NEXT) | instid1(VALU_DEP_3)
	v_mul_f64 v[31:32], v[27:28], v[39:40]
	v_mul_f64 v[39:40], v[33:34], -4.0
	s_delay_alu instid0(VALU_DEP_2) | instskip(NEXT) | instid1(VALU_DEP_2)
	v_fma_f64 v[35:36], v[29:30], v[35:36], -v[31:32]
	v_mul_f64 v[31:32], v[39:40], v[37:38]
	s_delay_alu instid0(VALU_DEP_1) | instskip(NEXT) | instid1(VALU_DEP_1)
	v_fma_f64 v[31:32], v[35:36], v[35:36], v[31:32]
	v_cmp_gt_f64_e64 s2, 0x10000000, |v[31:32]|
	s_delay_alu instid0(VALU_DEP_1) | instskip(NEXT) | instid1(VALU_DEP_1)
	v_cndmask_b32_e64 v39, 0, 1, s2
	v_lshlrev_b32_e32 v39, 8, v39
	s_delay_alu instid0(VALU_DEP_1) | instskip(NEXT) | instid1(VALU_DEP_1)
	v_ldexp_f64 v[31:32], |v[31:32]|, v39
	v_rsq_f64_e32 v[39:40], v[31:32]
	v_cmp_class_f64_e64 vcc_lo, v[31:32], 0x260
	s_waitcnt_depctr 0xfff
	v_mul_f64 v[41:42], v[31:32], v[39:40]
	v_mul_f64 v[39:40], v[39:40], 0.5
	s_delay_alu instid0(VALU_DEP_1) | instskip(NEXT) | instid1(VALU_DEP_1)
	v_fma_f64 v[43:44], -v[39:40], v[41:42], 0.5
	v_fma_f64 v[41:42], v[41:42], v[43:44], v[41:42]
	v_fma_f64 v[39:40], v[39:40], v[43:44], v[39:40]
	s_delay_alu instid0(VALU_DEP_2) | instskip(NEXT) | instid1(VALU_DEP_1)
	v_fma_f64 v[43:44], -v[41:42], v[41:42], v[31:32]
	v_fma_f64 v[41:42], v[43:44], v[39:40], v[41:42]
	s_delay_alu instid0(VALU_DEP_1) | instskip(NEXT) | instid1(VALU_DEP_1)
	v_fma_f64 v[43:44], -v[41:42], v[41:42], v[31:32]
	v_fma_f64 v[39:40], v[43:44], v[39:40], v[41:42]
	v_cndmask_b32_e64 v41, 0, 0xffffff80, s2
	v_cmp_le_f64_e64 s2, 0, v[35:36]
	s_delay_alu instid0(VALU_DEP_2) | instskip(NEXT) | instid1(VALU_DEP_1)
	v_ldexp_f64 v[39:40], v[39:40], v41
	v_dual_cndmask_b32 v40, v40, v32 :: v_dual_cndmask_b32 v39, v39, v31
                                        ; implicit-def: $vgpr31_vgpr32
	s_delay_alu instid0(VALU_DEP_3) | instskip(NEXT) | instid1(SALU_CYCLE_1)
	s_and_saveexec_b32 s3, s2
	s_xor_b32 s2, exec_lo, s3
	s_cbranch_execz .LBB23_219
; %bb.218:                              ;   in Loop: Header=BB23_217 Depth=3
	s_delay_alu instid0(VALU_DEP_1) | instskip(SKIP_1) | instid1(VALU_DEP_1)
	v_add_f64 v[31:32], v[35:36], v[39:40]
	v_add_f64 v[33:34], v[37:38], v[37:38]
	v_div_scale_f64 v[35:36], null, v[33:34], v[33:34], v[31:32]
	s_delay_alu instid0(VALU_DEP_1) | instskip(SKIP_2) | instid1(VALU_DEP_1)
	v_rcp_f64_e32 v[37:38], v[35:36]
	s_waitcnt_depctr 0xfff
	v_fma_f64 v[39:40], -v[35:36], v[37:38], 1.0
	v_fma_f64 v[37:38], v[37:38], v[39:40], v[37:38]
	s_delay_alu instid0(VALU_DEP_1) | instskip(NEXT) | instid1(VALU_DEP_1)
	v_fma_f64 v[39:40], -v[35:36], v[37:38], 1.0
	v_fma_f64 v[37:38], v[37:38], v[39:40], v[37:38]
	v_div_scale_f64 v[39:40], vcc_lo, v[31:32], v[33:34], v[31:32]
	s_delay_alu instid0(VALU_DEP_1) | instskip(NEXT) | instid1(VALU_DEP_1)
	v_mul_f64 v[41:42], v[39:40], v[37:38]
	v_fma_f64 v[35:36], -v[35:36], v[41:42], v[39:40]
                                        ; implicit-def: $vgpr39_vgpr40
	s_delay_alu instid0(VALU_DEP_1) | instskip(NEXT) | instid1(VALU_DEP_1)
	v_div_fmas_f64 v[35:36], v[35:36], v[37:38], v[41:42]
	v_div_fixup_f64 v[31:32], v[35:36], v[33:34], v[31:32]
                                        ; implicit-def: $vgpr33_vgpr34
                                        ; implicit-def: $vgpr35_vgpr36
.LBB23_219:                             ;   in Loop: Header=BB23_217 Depth=3
	s_and_not1_saveexec_b32 s2, s2
	s_cbranch_execz .LBB23_221
; %bb.220:                              ;   in Loop: Header=BB23_217 Depth=3
	v_add_f64 v[31:32], v[33:34], v[33:34]
	v_add_f64 v[33:34], v[35:36], -v[39:40]
	s_delay_alu instid0(VALU_DEP_1) | instskip(NEXT) | instid1(VALU_DEP_1)
	v_div_scale_f64 v[35:36], null, v[33:34], v[33:34], v[31:32]
	v_rcp_f64_e32 v[37:38], v[35:36]
	s_waitcnt_depctr 0xfff
	v_fma_f64 v[39:40], -v[35:36], v[37:38], 1.0
	s_delay_alu instid0(VALU_DEP_1) | instskip(NEXT) | instid1(VALU_DEP_1)
	v_fma_f64 v[37:38], v[37:38], v[39:40], v[37:38]
	v_fma_f64 v[39:40], -v[35:36], v[37:38], 1.0
	s_delay_alu instid0(VALU_DEP_1) | instskip(SKIP_1) | instid1(VALU_DEP_1)
	v_fma_f64 v[37:38], v[37:38], v[39:40], v[37:38]
	v_div_scale_f64 v[39:40], vcc_lo, v[31:32], v[33:34], v[31:32]
	v_mul_f64 v[41:42], v[39:40], v[37:38]
	s_delay_alu instid0(VALU_DEP_1) | instskip(NEXT) | instid1(VALU_DEP_1)
	v_fma_f64 v[35:36], -v[35:36], v[41:42], v[39:40]
	v_div_fmas_f64 v[35:36], v[35:36], v[37:38], v[41:42]
	s_delay_alu instid0(VALU_DEP_1)
	v_div_fixup_f64 v[31:32], v[35:36], v[33:34], v[31:32]
.LBB23_221:                             ;   in Loop: Header=BB23_217 Depth=3
	s_or_b32 exec_lo, exec_lo, s2
	s_delay_alu instid0(VALU_DEP_1) | instskip(SKIP_1) | instid1(VALU_DEP_1)
	v_mul_f64 v[33:34], v[29:30], v[31:32]
	s_mov_b32 s2, exec_lo
	v_cmpx_lt_f64_e32 0, v[33:34]
; %bb.222:                              ;   in Loop: Header=BB23_217 Depth=3
	v_div_scale_f64 v[31:32], null, v[27:28], v[27:28], -v[29:30]
	s_delay_alu instid0(VALU_DEP_1) | instskip(SKIP_2) | instid1(VALU_DEP_1)
	v_rcp_f64_e32 v[33:34], v[31:32]
	s_waitcnt_depctr 0xfff
	v_fma_f64 v[35:36], -v[31:32], v[33:34], 1.0
	v_fma_f64 v[33:34], v[33:34], v[35:36], v[33:34]
	s_delay_alu instid0(VALU_DEP_1) | instskip(NEXT) | instid1(VALU_DEP_1)
	v_fma_f64 v[35:36], -v[31:32], v[33:34], 1.0
	v_fma_f64 v[33:34], v[33:34], v[35:36], v[33:34]
	v_div_scale_f64 v[35:36], vcc_lo, -v[29:30], v[27:28], -v[29:30]
	s_delay_alu instid0(VALU_DEP_1) | instskip(NEXT) | instid1(VALU_DEP_1)
	v_mul_f64 v[37:38], v[35:36], v[33:34]
	v_fma_f64 v[31:32], -v[31:32], v[37:38], v[35:36]
	s_delay_alu instid0(VALU_DEP_1) | instskip(NEXT) | instid1(VALU_DEP_1)
	v_div_fmas_f64 v[31:32], v[31:32], v[33:34], v[37:38]
	v_div_fixup_f64 v[31:32], v[31:32], v[27:28], -v[29:30]
; %bb.223:                              ;   in Loop: Header=BB23_217 Depth=3
	s_or_b32 exec_lo, exec_lo, s2
	v_cmp_lt_f64_e32 vcc_lo, v[23:24], v[1:2]
	v_cmp_lt_f64_e64 s2, 0, v[29:30]
	v_cmp_lt_f64_e64 s3, v[1:2], v[7:8]
	s_delay_alu instid0(VALU_DEP_4) | instskip(SKIP_2) | instid1(VALU_DEP_4)
	v_add_f64 v[27:28], v[1:2], v[31:32]
	v_dual_cndmask_b32 v33, v23, v1 :: v_dual_cndmask_b32 v34, v24, v2
	v_cmp_nge_f64_e32 vcc_lo, 0, v[29:30]
	s_and_b32 s2, s2, s3
	s_delay_alu instid0(SALU_CYCLE_1) | instskip(SKIP_2) | instid1(VALU_DEP_2)
	v_cndmask_b32_e64 v8, v8, v2, s2
	v_cndmask_b32_e64 v7, v7, v1, s2
	v_dual_cndmask_b32 v24, v34, v24 :: v_dual_cndmask_b32 v23, v33, v23
	v_cmp_gt_f64_e32 vcc_lo, v[27:28], v[7:8]
	s_delay_alu instid0(VALU_DEP_2) | instskip(NEXT) | instid1(VALU_DEP_1)
	v_cmp_lt_f64_e64 s2, v[27:28], v[23:24]
	s_or_b32 s3, vcc_lo, s2
	s_delay_alu instid0(SALU_CYCLE_1)
	s_and_saveexec_b32 s2, s3
	s_cbranch_execz .LBB23_229
; %bb.224:                              ;   in Loop: Header=BB23_217 Depth=3
	s_mov_b32 s3, exec_lo
                                        ; implicit-def: $vgpr31_vgpr32
	v_cmpx_ngt_f64_e32 0, v[29:30]
	s_xor_b32 s3, exec_lo, s3
; %bb.225:                              ;   in Loop: Header=BB23_217 Depth=3
	v_add_f64 v[27:28], v[23:24], -v[1:2]
	s_delay_alu instid0(VALU_DEP_1)
	v_mul_f64 v[31:32], v[27:28], 0.5
; %bb.226:                              ;   in Loop: Header=BB23_217 Depth=3
	s_and_not1_saveexec_b32 s3, s3
; %bb.227:                              ;   in Loop: Header=BB23_217 Depth=3
	v_add_f64 v[27:28], v[7:8], -v[1:2]
	s_delay_alu instid0(VALU_DEP_1)
	v_mul_f64 v[31:32], v[27:28], 0.5
; %bb.228:                              ;   in Loop: Header=BB23_217 Depth=3
	s_or_b32 exec_lo, exec_lo, s3
.LBB23_229:                             ;   in Loop: Header=BB23_217 Depth=3
	s_delay_alu instid0(SALU_CYCLE_1) | instskip(SKIP_3) | instid1(VALU_DEP_1)
	s_or_b32 exec_lo, exec_lo, s2
	v_mov_b32_e32 v27, 0
	v_mov_b32_e32 v28, 0
	s_and_not1_b32 vcc_lo, exec_lo, s25
	v_dual_mov_b32 v30, v28 :: v_dual_mov_b32 v29, v27
	v_dual_mov_b32 v34, v28 :: v_dual_mov_b32 v33, v27
	s_cbranch_vccnz .LBB23_216
; %bb.230:                              ;   in Loop: Header=BB23_217 Depth=3
	v_dual_mov_b32 v27, 0 :: v_dual_mov_b32 v26, v22
	v_dual_mov_b32 v28, 0 :: v_dual_mov_b32 v25, v21
	s_mov_b64 s[2:3], s[28:29]
	s_mov_b32 s9, s40
	s_delay_alu instid0(VALU_DEP_1)
	v_dual_mov_b32 v30, v28 :: v_dual_mov_b32 v29, v27
	v_dual_mov_b32 v34, v28 :: v_dual_mov_b32 v33, v27
	s_set_inst_prefetch_distance 0x1
	.p2align	6
.LBB23_231:                             ;   Parent Loop BB23_4 Depth=1
                                        ;     Parent Loop BB23_40 Depth=2
                                        ;       Parent Loop BB23_217 Depth=3
                                        ; =>      This Inner Loop Header: Depth=4
	global_load_b64 v[35:36], v[25:26], off
	s_add_i32 s9, s9, -1
	s_waitcnt vmcnt(0)
	v_add_f64 v[35:36], v[35:36], -v[31:32]
	global_store_b64 v[25:26], v[35:36], off
	global_load_b64 v[37:38], v10, s[2:3]
	s_add_u32 s2, s2, 8
	s_addc_u32 s3, s3, 0
	s_cmp_eq_u32 s9, 0
	s_waitcnt vmcnt(0)
	v_div_scale_f64 v[39:40], null, v[35:36], v[35:36], v[37:38]
	v_div_scale_f64 v[45:46], vcc_lo, v[37:38], v[35:36], v[37:38]
	s_delay_alu instid0(VALU_DEP_2) | instskip(SKIP_2) | instid1(VALU_DEP_1)
	v_rcp_f64_e32 v[41:42], v[39:40]
	s_waitcnt_depctr 0xfff
	v_fma_f64 v[43:44], -v[39:40], v[41:42], 1.0
	v_fma_f64 v[41:42], v[41:42], v[43:44], v[41:42]
	s_delay_alu instid0(VALU_DEP_1) | instskip(NEXT) | instid1(VALU_DEP_1)
	v_fma_f64 v[43:44], -v[39:40], v[41:42], 1.0
	v_fma_f64 v[41:42], v[41:42], v[43:44], v[41:42]
	s_delay_alu instid0(VALU_DEP_1) | instskip(NEXT) | instid1(VALU_DEP_1)
	v_mul_f64 v[43:44], v[45:46], v[41:42]
	v_fma_f64 v[39:40], -v[39:40], v[43:44], v[45:46]
	s_delay_alu instid0(VALU_DEP_1) | instskip(SKIP_2) | instid1(VALU_DEP_3)
	v_div_fmas_f64 v[39:40], v[39:40], v[41:42], v[43:44]
	v_add_co_u32 v25, vcc_lo, v25, 8
	v_add_co_ci_u32_e32 v26, vcc_lo, 0, v26, vcc_lo
	v_div_fixup_f64 v[35:36], v[39:40], v[35:36], v[37:38]
	s_delay_alu instid0(VALU_DEP_1) | instskip(SKIP_1) | instid1(VALU_DEP_2)
	v_fma_f64 v[33:34], v[37:38], v[35:36], v[33:34]
	v_fma_f64 v[27:28], v[35:36], v[35:36], v[27:28]
	v_add_f64 v[29:30], v[29:30], v[33:34]
	s_cbranch_scc0 .LBB23_231
; %bb.232:                              ;   in Loop: Header=BB23_217 Depth=3
	s_set_inst_prefetch_distance 0x2
	global_load_b64 v[25:26], v[5:6], off offset:-8
	s_branch .LBB23_216
.LBB23_233:                             ;   in Loop: Header=BB23_40 Depth=2
	s_or_b32 exec_lo, exec_lo, s7
.LBB23_234:                             ;   in Loop: Header=BB23_40 Depth=2
	s_delay_alu instid0(SALU_CYCLE_1)
	s_or_b32 exec_lo, exec_lo, s4
.LBB23_235:                             ;   in Loop: Header=BB23_40 Depth=2
	s_delay_alu instid0(SALU_CYCLE_1)
	s_or_b32 exec_lo, exec_lo, s5
	v_add_f64 v[5:6], v[3:4], v[1:2]
	s_or_b32 exec_lo, exec_lo, s6
	global_store_b64 v[19:20], v[5:6], off
	s_and_b32 exec_lo, exec_lo, s1
	s_cbranch_execz .LBB23_39
.LBB23_236:                             ;   in Loop: Header=BB23_40 Depth=2
	v_xor_b32_e32 v6, 0x80000000, v6
	global_store_b64 v[19:20], v[5:6], off
	s_branch .LBB23_39
.LBB23_237:                             ;   in Loop: Header=BB23_4 Depth=1
	s_or_b32 exec_lo, exec_lo, s82
; %bb.238:                              ;   in Loop: Header=BB23_4 Depth=1
	s_waitcnt_vscnt null, 0x0
	s_barrier
	buffer_gl0_inv
	s_and_saveexec_b32 s8, s0
	s_cbranch_execz .LBB23_2
; %bb.239:                              ;   in Loop: Header=BB23_4 Depth=1
	s_add_u32 s2, s49, s38
	s_addc_u32 s3, s50, s39
	s_add_u32 s0, s57, s26
	s_addc_u32 s1, s58, s27
	s_add_u32 s9, s0, 8
	v_mov_b32_e32 v9, v0
	s_addc_u32 s25, s1, 0
	s_add_u32 s4, s77, 8
	s_addc_u32 s5, s78, 0
	s_mov_b32 s26, 0
	s_branch .LBB23_242
.LBB23_240:                             ;   in Loop: Header=BB23_242 Depth=2
	v_mov_b32_e32 v1, 0
	v_mov_b32_e32 v2, 0x3ff00000
.LBB23_241:                             ;   in Loop: Header=BB23_242 Depth=2
	s_delay_alu instid0(VALU_DEP_1) | instskip(SKIP_2) | instid1(VALU_DEP_2)
	v_cmp_gt_f64_e64 s0, 0x10000000, |v[1:2]|
	v_lshlrev_b64 v[5:6], 3, v[9:10]
	v_add_nc_u32_e32 v9, s15, v9
	v_add_co_u32 v5, vcc_lo, s28, v5
	s_delay_alu instid0(VALU_DEP_3) | instskip(SKIP_2) | instid1(VALU_DEP_1)
	v_add_co_ci_u32_e32 v6, vcc_lo, s29, v6, vcc_lo
	global_load_b64 v[7:8], v[5:6], off
	v_cndmask_b32_e64 v3, 0, 1, s0
	v_lshlrev_b32_e32 v3, 8, v3
	s_delay_alu instid0(VALU_DEP_1) | instskip(NEXT) | instid1(VALU_DEP_1)
	v_ldexp_f64 v[1:2], |v[1:2]|, v3
	v_rsq_f64_e32 v[3:4], v[1:2]
	v_cmp_class_f64_e64 vcc_lo, v[1:2], 0x260
	s_waitcnt_depctr 0xfff
	v_mul_f64 v[11:12], v[1:2], v[3:4]
	v_mul_f64 v[3:4], v[3:4], 0.5
	s_delay_alu instid0(VALU_DEP_1) | instskip(NEXT) | instid1(VALU_DEP_1)
	v_fma_f64 v[13:14], -v[3:4], v[11:12], 0.5
	v_fma_f64 v[11:12], v[11:12], v[13:14], v[11:12]
	v_fma_f64 v[3:4], v[3:4], v[13:14], v[3:4]
	s_delay_alu instid0(VALU_DEP_2) | instskip(NEXT) | instid1(VALU_DEP_1)
	v_fma_f64 v[13:14], -v[11:12], v[11:12], v[1:2]
	v_fma_f64 v[11:12], v[13:14], v[3:4], v[11:12]
	s_delay_alu instid0(VALU_DEP_1) | instskip(NEXT) | instid1(VALU_DEP_1)
	v_fma_f64 v[13:14], -v[11:12], v[11:12], v[1:2]
	v_fma_f64 v[3:4], v[13:14], v[3:4], v[11:12]
	v_cndmask_b32_e64 v11, 0, 0xffffff80, s0
	s_waitcnt vmcnt(0)
	v_cmp_gt_f64_e64 s0, 0, v[7:8]
	s_delay_alu instid0(VALU_DEP_2) | instskip(NEXT) | instid1(VALU_DEP_1)
	v_ldexp_f64 v[3:4], v[3:4], v11
	v_dual_cndmask_b32 v2, v4, v2 :: v_dual_cndmask_b32 v1, v3, v1
	v_cmp_le_i32_e32 vcc_lo, s24, v9
	s_delay_alu instid0(VALU_DEP_2) | instskip(SKIP_1) | instid1(VALU_DEP_1)
	v_xor_b32_e32 v3, 0x80000000, v2
	s_or_b32 s26, vcc_lo, s26
	v_cndmask_b32_e64 v2, v2, v3, s0
	global_store_b64 v[5:6], v[1:2], off
	s_and_not1_b32 exec_lo, exec_lo, s26
	s_cbranch_execz .LBB23_2
.LBB23_242:                             ;   Parent Loop BB23_4 Depth=1
                                        ; =>  This Loop Header: Depth=2
                                        ;       Child Loop BB23_246 Depth 3
	s_and_not1_b32 vcc_lo, exec_lo, s76
	s_cbranch_vccnz .LBB23_240
; %bb.243:                              ;   in Loop: Header=BB23_242 Depth=2
	v_lshlrev_b64 v[3:4], 2, v[9:10]
	v_mov_b32_e32 v1, 0
	v_dual_mov_b32 v2, 0x3ff00000 :: v_dual_mov_b32 v5, v9
	s_mov_b32 s27, 0
	s_mov_b64 s[0:1], s[2:3]
	s_delay_alu instid0(VALU_DEP_3)
	v_add_co_u32 v3, vcc_lo, s9, v3
	v_add_co_ci_u32_e32 v4, vcc_lo, s25, v4, vcc_lo
	s_mov_b64 s[6:7], s[4:5]
	s_branch .LBB23_246
.LBB23_244:                             ;   in Loop: Header=BB23_246 Depth=3
	s_or_b32 exec_lo, exec_lo, s38
	s_waitcnt vmcnt(0)
	s_delay_alu instid0(VALU_DEP_1)
	v_mul_f64 v[1:2], v[1:2], v[6:7]
.LBB23_245:                             ;   in Loop: Header=BB23_246 Depth=3
	s_add_i32 s27, s27, 1
	s_add_u32 s6, s6, 4
	v_add_nc_u32_e32 v5, s34, v5
	s_addc_u32 s7, s7, 0
	s_add_u32 s0, s0, 8
	s_addc_u32 s1, s1, 0
	s_cmp_eq_u32 s75, s27
	s_cbranch_scc1 .LBB23_241
.LBB23_246:                             ;   Parent Loop BB23_4 Depth=1
                                        ;     Parent Loop BB23_242 Depth=2
                                        ; =>    This Inner Loop Header: Depth=3
	global_load_b32 v6, v10, s[6:7]
	s_waitcnt vmcnt(0)
	v_cmp_ne_u32_e32 vcc_lo, 1, v6
	s_cbranch_vccnz .LBB23_245
; %bb.247:                              ;   in Loop: Header=BB23_246 Depth=3
	v_ashrrev_i32_e32 v6, 31, v5
	s_mov_b32 s38, exec_lo
	s_delay_alu instid0(VALU_DEP_1) | instskip(NEXT) | instid1(VALU_DEP_1)
	v_lshlrev_b64 v[6:7], 3, v[5:6]
	v_add_co_u32 v6, vcc_lo, s79, v6
	s_delay_alu instid0(VALU_DEP_2)
	v_add_co_ci_u32_e32 v7, vcc_lo, s80, v7, vcc_lo
	global_load_b32 v11, v[3:4], off
	global_load_b64 v[6:7], v[6:7], off
	s_waitcnt vmcnt(1)
	v_cmpx_ne_u32_e64 s27, v11
	s_cbranch_execz .LBB23_244
; %bb.248:                              ;   in Loop: Header=BB23_246 Depth=3
	v_ashrrev_i32_e32 v12, 31, v11
	s_delay_alu instid0(VALU_DEP_1) | instskip(NEXT) | instid1(VALU_DEP_1)
	v_lshlrev_b64 v[11:12], 3, v[11:12]
	v_add_co_u32 v11, vcc_lo, s2, v11
	s_delay_alu instid0(VALU_DEP_2) | instskip(SKIP_4) | instid1(VALU_DEP_1)
	v_add_co_ci_u32_e32 v12, vcc_lo, s3, v12, vcc_lo
	global_load_b64 v[13:14], v10, s[0:1]
	global_load_b64 v[11:12], v[11:12], off
	s_waitcnt vmcnt(0)
	v_add_f64 v[11:12], v[11:12], -v[13:14]
	v_div_scale_f64 v[13:14], null, v[11:12], v[11:12], v[6:7]
	s_delay_alu instid0(VALU_DEP_1) | instskip(SKIP_2) | instid1(VALU_DEP_1)
	v_rcp_f64_e32 v[15:16], v[13:14]
	s_waitcnt_depctr 0xfff
	v_fma_f64 v[17:18], -v[13:14], v[15:16], 1.0
	v_fma_f64 v[15:16], v[15:16], v[17:18], v[15:16]
	s_delay_alu instid0(VALU_DEP_1) | instskip(NEXT) | instid1(VALU_DEP_1)
	v_fma_f64 v[17:18], -v[13:14], v[15:16], 1.0
	v_fma_f64 v[15:16], v[15:16], v[17:18], v[15:16]
	v_div_scale_f64 v[17:18], vcc_lo, v[6:7], v[11:12], v[6:7]
	s_delay_alu instid0(VALU_DEP_1) | instskip(NEXT) | instid1(VALU_DEP_1)
	v_mul_f64 v[19:20], v[17:18], v[15:16]
	v_fma_f64 v[13:14], -v[13:14], v[19:20], v[17:18]
	s_delay_alu instid0(VALU_DEP_1) | instskip(NEXT) | instid1(VALU_DEP_1)
	v_div_fmas_f64 v[13:14], v[13:14], v[15:16], v[19:20]
	v_div_fixup_f64 v[6:7], v[13:14], v[11:12], v[6:7]
	s_branch .LBB23_244
.LBB23_249:
	s_nop 0
	s_sendmsg sendmsg(MSG_DEALLOC_VGPRS)
	s_endpgm
	.section	.rodata,"a",@progbits
	.p2align	6, 0x0
	.amdhsa_kernel _ZN9rocsolver6v33100L25stedcx_mergeValues_kernelIdEEviiPT_lS3_lS3_S3_PiS2_S2_S2_
		.amdhsa_group_segment_fixed_size 0
		.amdhsa_private_segment_fixed_size 0
		.amdhsa_kernarg_size 344
		.amdhsa_user_sgpr_count 13
		.amdhsa_user_sgpr_dispatch_ptr 0
		.amdhsa_user_sgpr_queue_ptr 0
		.amdhsa_user_sgpr_kernarg_segment_ptr 1
		.amdhsa_user_sgpr_dispatch_id 0
		.amdhsa_user_sgpr_private_segment_size 0
		.amdhsa_wavefront_size32 1
		.amdhsa_uses_dynamic_stack 0
		.amdhsa_enable_private_segment 0
		.amdhsa_system_sgpr_workgroup_id_x 1
		.amdhsa_system_sgpr_workgroup_id_y 1
		.amdhsa_system_sgpr_workgroup_id_z 1
		.amdhsa_system_sgpr_workgroup_info 0
		.amdhsa_system_vgpr_workitem_id 0
		.amdhsa_next_free_vgpr 77
		.amdhsa_next_free_sgpr 101
		.amdhsa_reserve_vcc 1
		.amdhsa_float_round_mode_32 0
		.amdhsa_float_round_mode_16_64 0
		.amdhsa_float_denorm_mode_32 3
		.amdhsa_float_denorm_mode_16_64 3
		.amdhsa_dx10_clamp 1
		.amdhsa_ieee_mode 1
		.amdhsa_fp16_overflow 0
		.amdhsa_workgroup_processor_mode 1
		.amdhsa_memory_ordered 1
		.amdhsa_forward_progress 0
		.amdhsa_shared_vgpr_count 0
		.amdhsa_exception_fp_ieee_invalid_op 0
		.amdhsa_exception_fp_denorm_src 0
		.amdhsa_exception_fp_ieee_div_zero 0
		.amdhsa_exception_fp_ieee_overflow 0
		.amdhsa_exception_fp_ieee_underflow 0
		.amdhsa_exception_fp_ieee_inexact 0
		.amdhsa_exception_int_div_zero 0
	.end_amdhsa_kernel
	.section	.text._ZN9rocsolver6v33100L25stedcx_mergeValues_kernelIdEEviiPT_lS3_lS3_S3_PiS2_S2_S2_,"axG",@progbits,_ZN9rocsolver6v33100L25stedcx_mergeValues_kernelIdEEviiPT_lS3_lS3_S3_PiS2_S2_S2_,comdat
.Lfunc_end23:
	.size	_ZN9rocsolver6v33100L25stedcx_mergeValues_kernelIdEEviiPT_lS3_lS3_S3_PiS2_S2_S2_, .Lfunc_end23-_ZN9rocsolver6v33100L25stedcx_mergeValues_kernelIdEEviiPT_lS3_lS3_S3_PiS2_S2_S2_
                                        ; -- End function
	.section	.AMDGPU.csdata,"",@progbits
; Kernel info:
; codeLenInByte = 17940
; NumSgprs: 103
; NumVgprs: 77
; ScratchSize: 0
; MemoryBound: 1
; FloatMode: 240
; IeeeMode: 1
; LDSByteSize: 0 bytes/workgroup (compile time only)
; SGPRBlocks: 12
; VGPRBlocks: 9
; NumSGPRsForWavesPerEU: 103
; NumVGPRsForWavesPerEU: 77
; Occupancy: 16
; WaveLimiterHint : 1
; COMPUTE_PGM_RSRC2:SCRATCH_EN: 0
; COMPUTE_PGM_RSRC2:USER_SGPR: 13
; COMPUTE_PGM_RSRC2:TRAP_HANDLER: 0
; COMPUTE_PGM_RSRC2:TGID_X_EN: 1
; COMPUTE_PGM_RSRC2:TGID_Y_EN: 1
; COMPUTE_PGM_RSRC2:TGID_Z_EN: 1
; COMPUTE_PGM_RSRC2:TIDIG_COMP_CNT: 0
	.section	.text._ZN9rocsolver6v33100L26stedcx_mergeVectors_kernelILb0EdEEviiPT0_lS3_lS3_iilS3_S3_Pi,"axG",@progbits,_ZN9rocsolver6v33100L26stedcx_mergeVectors_kernelILb0EdEEviiPT0_lS3_lS3_iilS3_S3_Pi,comdat
	.globl	_ZN9rocsolver6v33100L26stedcx_mergeVectors_kernelILb0EdEEviiPT0_lS3_lS3_iilS3_S3_Pi ; -- Begin function _ZN9rocsolver6v33100L26stedcx_mergeVectors_kernelILb0EdEEviiPT0_lS3_lS3_iilS3_S3_Pi
	.p2align	8
	.type	_ZN9rocsolver6v33100L26stedcx_mergeVectors_kernelILb0EdEEviiPT0_lS3_lS3_iilS3_S3_Pi,@function
_ZN9rocsolver6v33100L26stedcx_mergeVectors_kernelILb0EdEEviiPT0_lS3_lS3_iilS3_S3_Pi: ; @_ZN9rocsolver6v33100L26stedcx_mergeVectors_kernelILb0EdEEviiPT0_lS3_lS3_iilS3_S3_Pi
; %bb.0:
	s_clause 0x1
	s_load_b128 s[16:19], s[0:1], 0x28
	s_load_b256 s[4:11], s[0:1], 0x38
	s_waitcnt lgkmcnt(0)
	s_cmp_eq_u64 s[16:17], 0
	s_cbranch_scc1 .LBB24_2
; %bb.1:
	s_mul_i32 s2, s15, s5
	s_mul_hi_u32 s3, s15, s4
	s_ashr_i32 s5, s15, 31
	s_add_i32 s2, s3, s2
	s_mul_i32 s5, s5, s4
	s_delay_alu instid0(SALU_CYCLE_1)
	s_add_i32 s3, s2, s5
	s_mul_i32 s2, s15, s4
	s_ashr_i32 s5, s18, 31
	s_lshl_b64 s[2:3], s[2:3], 3
	s_mov_b32 s4, s18
	s_add_u32 s12, s16, s2
	s_addc_u32 s16, s17, s3
	s_lshl_b64 s[2:3], s[4:5], 3
	s_delay_alu instid0(SALU_CYCLE_1)
	s_add_u32 s4, s12, s2
	s_addc_u32 s5, s16, s3
	s_branch .LBB24_3
.LBB24_2:
                                        ; implicit-def: $sgpr4_sgpr5
.LBB24_3:
	s_load_b64 s[16:17], s[0:1], 0x0
	s_waitcnt lgkmcnt(0)
	s_mul_i32 s2, s17, 5
	s_mov_b32 s22, s17
	s_add_i32 s2, s2, 2
	s_delay_alu instid0(SALU_CYCLE_1) | instskip(NEXT) | instid1(SALU_CYCLE_1)
	s_mul_i32 s2, s2, s15
	s_ashr_i32 s3, s2, 31
	s_delay_alu instid0(SALU_CYCLE_1) | instskip(NEXT) | instid1(SALU_CYCLE_1)
	s_lshl_b64 s[2:3], s[2:3], 2
	s_add_u32 s12, s10, s2
	s_addc_u32 s18, s11, s3
	s_ashr_i32 s23, s17, 31
	s_delay_alu instid0(SALU_CYCLE_1) | instskip(NEXT) | instid1(SALU_CYCLE_1)
	s_lshl_b64 s[24:25], s[22:23], 2
	s_add_u32 s20, s12, s24
	s_addc_u32 s21, s18, s25
	s_load_b32 s30, s[20:21], 0x4
	s_waitcnt lgkmcnt(0)
	s_cmp_ge_i32 s14, s30
	s_cbranch_scc1 .LBB24_47
; %bb.4:
	s_load_b32 s48, s[0:1], 0x64
	s_add_u32 s31, s20, s24
	s_addc_u32 s33, s21, s25
	s_add_u32 s41, s31, s24
	s_mul_i32 s0, s17, s17
	s_addc_u32 s42, s33, s25
	s_lshl_b32 s15, s15, 1
	s_mov_b32 s1, 0
	s_mul_i32 s26, s15, s0
	s_mul_i32 s28, s15, s17
	s_ashr_i32 s27, s26, 31
	s_ashr_i32 s29, s28, 31
	s_lshl_b64 s[26:27], s[26:27], 3
	v_lshlrev_b32_e32 v1, 3, v0
	s_add_u32 s34, s8, s26
	s_addc_u32 s35, s9, s27
	s_lshl_b32 s36, 2, s16
	s_not_b32 s37, s16
	s_ashr_i32 s38, s13, 31
	s_abs_i32 s40, s13
	s_waitcnt lgkmcnt(0)
	s_and_b32 s39, 0xffff, s48
	s_add_u32 s41, s41, 8
	s_addc_u32 s42, s42, 0
	s_add_u32 s15, s24, s2
	s_addc_u32 s24, s25, s3
	;; [unrolled: 2-line block ×4, first 2 shown]
	s_lshl_b64 s[24:25], s[0:1], 3
	v_cvt_f32_u32_e32 v2, s36
	s_add_u32 s1, s26, s24
	s_addc_u32 s15, s27, s25
	s_add_u32 s45, s8, s1
	s_addc_u32 s46, s9, s15
	s_lshl_b64 s[8:9], s[28:29], 3
	s_lshl_b32 s47, s39, 3
	s_add_u32 s1, s6, s8
	v_add_nc_u32_e32 v13, 0, v1
	v_add_co_u32 v14, s1, s1, v1
	v_rcp_iflag_f32_e32 v1, v2
	s_addc_u32 s6, s7, s9
	v_lshlrev_b32_e32 v2, 2, v0
	v_add_co_ci_u32_e64 v15, null, s6, 0, s1
	s_lshl_b64 s[6:7], s[22:23], 4
	v_cmp_eq_u32_e64 s0, 0, v0
	s_add_u32 s1, s6, s2
	s_addc_u32 s2, s7, s3
	s_add_u32 s1, s10, s1
	s_waitcnt_depctr 0xfff
	v_mul_f32_e32 v1, 0x4f7ffffe, v1
	s_addc_u32 s2, s11, s2
	v_add_co_u32 v2, s1, s1, v2
	s_delay_alu instid0(VALU_DEP_1) | instskip(NEXT) | instid1(VALU_DEP_3)
	v_add_co_ci_u32_e64 v3, null, s2, 0, s1
	v_cvt_u32_f32_e32 v18, v1
	s_delay_alu instid0(VALU_DEP_3) | instskip(NEXT) | instid1(VALU_DEP_3)
	v_add_co_u32 v16, vcc_lo, v2, 8
	v_add_co_ci_u32_e32 v17, vcc_lo, 0, v3, vcc_lo
	v_cmp_gt_u16_e64 s48, s48, 1
	v_mov_b32_e32 v19, 0
	s_lshl_b32 s49, s39, 2
	s_sub_i32 s50, 0, s36
                                        ; implicit-def: $vgpr1_vgpr2
	s_branch .LBB24_6
.LBB24_5:                               ;   in Loop: Header=BB24_6 Depth=1
	s_add_i32 s14, s14, 8
	s_delay_alu instid0(SALU_CYCLE_1)
	s_cmp_ge_i32 s14, s30
	s_cbranch_scc1 .LBB24_47
.LBB24_6:                               ; =>This Loop Header: Depth=1
                                        ;     Child Loop BB24_14 Depth 2
                                        ;     Child Loop BB24_17 Depth 2
	;; [unrolled: 1-line block ×6, first 2 shown]
                                        ;       Child Loop BB24_35 Depth 3
                                        ;       Child Loop BB24_38 Depth 3
	s_ashr_i32 s15, s14, 31
	s_delay_alu instid0(SALU_CYCLE_1)
	s_lshl_b64 s[2:3], s[14:15], 2
	s_barrier
	s_add_u32 s2, s12, s2
	s_addc_u32 s3, s18, s3
	buffer_gl0_inv
	s_load_b64 s[2:3], s[2:3], 0x0
	s_mov_b32 s1, 0
	s_waitcnt lgkmcnt(0)
	s_sub_i32 s3, s3, s2
	s_delay_alu instid0(SALU_CYCLE_1)
	s_cmp_lt_i32 s3, 3
	s_cbranch_scc1 .LBB24_11
; %bb.7:                                ;   in Loop: Header=BB24_6 Depth=1
	s_cmp_lt_u32 s3, 5
	s_mov_b32 s1, 1
	s_cbranch_scc1 .LBB24_11
; %bb.8:                                ;   in Loop: Header=BB24_6 Depth=1
	s_cmp_lt_u32 s3, 33
	s_mov_b32 s1, 2
	s_cbranch_scc1 .LBB24_11
; %bb.9:                                ;   in Loop: Header=BB24_6 Depth=1
	s_cmpk_lt_u32 s3, 0xe9
	s_mov_b32 s1, 4
	s_cbranch_scc1 .LBB24_11
; %bb.10:                               ;   in Loop: Header=BB24_6 Depth=1
	s_cmpk_lt_u32 s3, 0x128
	s_cselect_b32 s1, 5, 7
	s_cmpk_lt_u32 s3, 0x79b
	s_cselect_b32 s1, s1, 8
.LBB24_11:                              ;   in Loop: Header=BB24_6 Depth=1
	s_delay_alu instid0(SALU_CYCLE_1) | instskip(SKIP_4) | instid1(SALU_CYCLE_1)
	s_lshl_b32 s6, 1, s1
	s_add_i32 s3, s3, -1
	v_cvt_f32_u32_e32 v3, s6
	s_sub_i32 s8, 0, s6
	s_ashr_i32 s51, s3, 31
	s_add_i32 s3, s3, s51
	s_delay_alu instid0(VALU_DEP_1) | instskip(SKIP_3) | instid1(VALU_DEP_1)
	v_rcp_iflag_f32_e32 v3, v3
	s_xor_b32 s52, s3, s51
	s_waitcnt_depctr 0xfff
	v_mul_f32_e32 v3, 0x4f7ffffe, v3
	v_cvt_u32_f32_e32 v3, v3
	s_delay_alu instid0(VALU_DEP_1) | instskip(NEXT) | instid1(VALU_DEP_1)
	v_readfirstlane_b32 s7, v3
	s_mul_i32 s8, s8, s7
	s_delay_alu instid0(SALU_CYCLE_1) | instskip(NEXT) | instid1(SALU_CYCLE_1)
	s_mul_hi_u32 s8, s7, s8
	s_add_i32 s7, s7, s8
	s_delay_alu instid0(SALU_CYCLE_1) | instskip(NEXT) | instid1(SALU_CYCLE_1)
	s_mul_hi_u32 s3, s52, s7
	s_mul_i32 s7, s3, s6
	s_add_i32 s8, s3, 1
	s_sub_i32 s7, s52, s7
	s_delay_alu instid0(SALU_CYCLE_1)
	s_sub_i32 s9, s7, s6
	s_cmp_ge_u32 s7, s6
	s_cselect_b32 s3, s8, s3
	s_cselect_b32 s7, s9, s7
	s_add_i32 s8, s3, 1
	s_cmp_ge_u32 s7, s6
	s_cselect_b32 s3, s8, s3
	s_delay_alu instid0(SALU_CYCLE_1) | instskip(NEXT) | instid1(SALU_CYCLE_1)
	s_xor_b32 s3, s3, s51
	s_sub_i32 s53, s3, s51
	s_delay_alu instid0(SALU_CYCLE_1) | instskip(NEXT) | instid1(SALU_CYCLE_1)
	s_add_i32 s53, s53, 1
	s_lshl_b32 s3, s53, s1
	s_delay_alu instid0(SALU_CYCLE_1) | instskip(SKIP_3) | instid1(SALU_CYCLE_1)
	s_cmp_ge_i32 s13, s3
	s_cselect_b32 s3, -1, 0
	s_cmp_le_i32 s1, s16
	s_cselect_b32 s6, -1, 0
	s_or_b32 s3, s6, s3
	s_delay_alu instid0(SALU_CYCLE_1)
	s_and_b32 vcc_lo, exec_lo, s3
	s_cbranch_vccnz .LBB24_5
; %bb.12:                               ;   in Loop: Header=BB24_6 Depth=1
	s_ashr_i32 s3, s2, 31
	s_delay_alu instid0(SALU_CYCLE_1) | instskip(NEXT) | instid1(SALU_CYCLE_1)
	s_lshl_b64 s[10:11], s[2:3], 2
	s_add_u32 s15, s20, s10
	s_addc_u32 s25, s21, s11
	s_add_u32 s26, s31, s10
	s_addc_u32 s27, s33, s11
	s_abs_i32 s2, s53
	s_delay_alu instid0(SALU_CYCLE_1) | instskip(SKIP_1) | instid1(VALU_DEP_1)
	v_cvt_f32_u32_e32 v3, s2
	s_sub_i32 s6, 0, s2
	v_rcp_iflag_f32_e32 v3, v3
	s_waitcnt_depctr 0xfff
	v_mul_f32_e32 v3, 0x4f7ffffe, v3
	s_delay_alu instid0(VALU_DEP_1) | instskip(NEXT) | instid1(VALU_DEP_1)
	v_cvt_u32_f32_e32 v3, v3
	v_readfirstlane_b32 s3, v3
	s_delay_alu instid0(VALU_DEP_1) | instskip(NEXT) | instid1(SALU_CYCLE_1)
	s_mul_i32 s6, s6, s3
	s_mul_hi_u32 s6, s3, s6
	s_delay_alu instid0(SALU_CYCLE_1)
	s_add_i32 s3, s3, s6
	s_ashr_i32 s6, s53, 31
	s_mul_hi_u32 s3, s40, s3
	s_xor_b32 s6, s38, s6
	s_mul_i32 s7, s3, s2
	s_add_i32 s8, s3, 1
	s_sub_i32 s7, s40, s7
	s_delay_alu instid0(SALU_CYCLE_1)
	s_sub_i32 s9, s7, s2
	s_cmp_ge_u32 s7, s2
	s_cselect_b32 s3, s8, s3
	s_cselect_b32 s7, s9, s7
	s_add_i32 s8, s3, 1
	s_cmp_ge_u32 s7, s2
	s_cselect_b32 s2, s8, s3
	v_readfirstlane_b32 s8, v18
	s_xor_b32 s2, s2, s6
	s_delay_alu instid0(SALU_CYCLE_1) | instskip(NEXT) | instid1(SALU_CYCLE_1)
	s_sub_i32 s2, s2, s6
	s_ashr_i32 s3, s2, 31
	s_delay_alu instid0(VALU_DEP_1)
	s_mul_i32 s9, s50, s8
	s_lshl_b64 s[22:23], s[2:3], 2
	s_mul_hi_u32 s9, s8, s9
	s_add_u32 s6, s26, s22
	s_addc_u32 s7, s27, s23
	s_add_i32 s24, s2, s3
	s_add_i32 s8, s8, s9
	s_xor_b32 s24, s24, s3
	s_delay_alu instid0(SALU_CYCLE_1) | instskip(NEXT) | instid1(SALU_CYCLE_1)
	s_mul_hi_u32 s8, s24, s8
	s_mul_i32 s8, s8, s36
	s_delay_alu instid0(SALU_CYCLE_1) | instskip(NEXT) | instid1(SALU_CYCLE_1)
	s_sub_i32 s8, s24, s8
	s_sub_i32 s9, s8, s36
	s_cmp_ge_u32 s8, s36
	s_cselect_b32 s8, s9, s8
	s_delay_alu instid0(SALU_CYCLE_1) | instskip(SKIP_2) | instid1(SALU_CYCLE_1)
	s_sub_i32 s9, s8, s36
	s_cmp_ge_u32 s8, s36
	s_cselect_b32 s8, s9, s8
	s_xor_b32 s8, s8, s3
	s_delay_alu instid0(SALU_CYCLE_1) | instskip(NEXT) | instid1(SALU_CYCLE_1)
	s_sub_i32 s24, s8, s3
	s_sub_i32 s8, s2, s24
	s_delay_alu instid0(SALU_CYCLE_1) | instskip(NEXT) | instid1(SALU_CYCLE_1)
	s_ashr_i32 s9, s8, 31
	s_lshl_b64 s[8:9], s[8:9], 2
	s_delay_alu instid0(SALU_CYCLE_1)
	s_add_u32 s26, s26, s8
	s_addc_u32 s27, s27, s9
	s_add_u32 s8, s15, s22
	s_addc_u32 s9, s25, s23
	s_cmp_lt_i32 s24, 1
	s_load_b32 s15, s[8:9], 0x8
	s_cbranch_scc1 .LBB24_15
; %bb.13:                               ;   in Loop: Header=BB24_6 Depth=1
	s_add_i32 s3, s24, 1
	s_add_u32 s54, s10, s22
	s_addc_u32 s55, s11, s23
	s_ashr_i32 s25, s24, 31
	s_delay_alu instid0(SALU_CYCLE_1) | instskip(NEXT) | instid1(SALU_CYCLE_1)
	s_lshl_b64 s[28:29], s[24:25], 2
	s_sub_u32 s25, s54, s28
	s_subb_u32 s29, s55, s29
	s_add_u32 s28, s43, s25
	s_addc_u32 s29, s44, s29
.LBB24_14:                              ;   Parent Loop BB24_6 Depth=1
                                        ; =>  This Inner Loop Header: Depth=2
	s_load_b32 s25, s[28:29], 0x0
	s_add_i32 s3, s3, -1
	s_waitcnt lgkmcnt(0)
	s_add_i32 s15, s25, s15
	s_add_u32 s28, s28, 4
	s_addc_u32 s29, s29, 0
	s_cmp_lt_u32 s3, 2
	s_cbranch_scc0 .LBB24_14
.LBB24_15:                              ;   in Loop: Header=BB24_6 Depth=1
	s_clause 0x1
	s_load_b32 s3, s[6:7], 0x8
	s_load_b32 s6, s[26:27], 0x8
	s_not_b32 s7, s24
	s_delay_alu instid0(SALU_CYCLE_1) | instskip(NEXT) | instid1(SALU_CYCLE_1)
	s_add_i32 s26, s36, s7
	s_cmp_lt_i32 s26, 1
	s_cbranch_scc1 .LBB24_18
; %bb.16:                               ;   in Loop: Header=BB24_6 Depth=1
	s_ashr_i32 s27, s26, 31
	s_delay_alu instid0(SALU_CYCLE_1) | instskip(NEXT) | instid1(SALU_CYCLE_1)
	s_lshl_b64 s[26:27], s[26:27], 2
	s_add_u32 s7, s10, s26
	s_addc_u32 s10, s11, s27
	s_add_u32 s7, s7, s22
	s_addc_u32 s11, s10, s23
	s_add_u32 s10, s43, s7
	s_addc_u32 s11, s44, s11
	s_sub_i32 s7, s36, s24
.LBB24_17:                              ;   Parent Loop BB24_6 Depth=1
                                        ; =>  This Inner Loop Header: Depth=2
	s_load_b32 s22, s[10:11], 0x0
	s_waitcnt lgkmcnt(0)
	s_add_i32 s15, s22, s15
	s_add_u32 s10, s10, -4
	s_addc_u32 s11, s11, -1
	s_add_i32 s7, s7, -1
	s_delay_alu instid0(SALU_CYCLE_1)
	s_cmp_lt_u32 s7, 2
	s_cbranch_scc0 .LBB24_17
.LBB24_18:                              ;   in Loop: Header=BB24_6 Depth=1
	s_waitcnt lgkmcnt(0)
	s_ashr_i32 s7, s6, 31
	s_cmp_lt_i32 s15, 1
	s_cbranch_scc1 .LBB24_21
; %bb.19:                               ;   in Loop: Header=BB24_6 Depth=1
	s_lshl_b64 s[10:11], s[6:7], 2
	s_mov_b32 s22, 0
	s_add_u32 s10, s41, s10
	s_addc_u32 s11, s42, s11
	s_mov_b32 s23, s15
.LBB24_20:                              ;   Parent Loop BB24_6 Depth=1
                                        ; =>  This Inner Loop Header: Depth=2
	s_load_b32 s24, s[10:11], 0x0
	s_waitcnt lgkmcnt(0)
	s_cmp_eq_u32 s24, 1
	s_cselect_b32 s24, -1, 0
	s_delay_alu instid0(SALU_CYCLE_1)
	s_cmp_lg_u32 s24, 0
	s_addc_u32 s22, s22, 0
	s_add_i32 s23, s23, -1
	s_add_u32 s10, s10, 4
	s_addc_u32 s11, s11, 0
	s_cmp_eq_u32 s23, 0
	s_cbranch_scc0 .LBB24_20
	s_branch .LBB24_22
.LBB24_21:                              ;   in Loop: Header=BB24_6 Depth=1
	s_mov_b32 s22, 0
.LBB24_22:                              ;   in Loop: Header=BB24_6 Depth=1
	s_barrier
	buffer_gl0_inv
	s_load_b32 s8, s[8:9], 0x8
	s_mul_i32 s2, s2, s53
	s_delay_alu instid0(SALU_CYCLE_1)
	s_sub_i32 s2, s13, s2
	s_waitcnt lgkmcnt(0)
	s_cmp_lt_i32 s2, s8
	s_cbranch_scc0 .LBB24_5
; %bb.23:                               ;   in Loop: Header=BB24_6 Depth=1
	s_add_i32 s2, s2, s3
	v_cmp_gt_i32_e32 vcc_lo, s22, v0
	s_ashr_i32 s3, s2, 31
	s_delay_alu instid0(SALU_CYCLE_1) | instskip(NEXT) | instid1(SALU_CYCLE_1)
	s_lshl_b64 s[8:9], s[2:3], 2
	s_add_u32 s8, s41, s8
	s_addc_u32 s9, s42, s9
	s_load_b32 s10, s[8:9], 0x0
	s_waitcnt lgkmcnt(0)
	s_cmp_lg_u32 s10, 1
	s_cbranch_scc1 .LBB24_30
; %bb.24:                               ;   in Loop: Header=BB24_6 Depth=1
	v_mov_b32_e32 v1, 0
	v_mov_b32_e32 v2, 0
	s_and_saveexec_b32 s3, vcc_lo
	s_cbranch_execz .LBB24_28
; %bb.25:                               ;   in Loop: Header=BB24_6 Depth=1
	s_delay_alu instid0(VALU_DEP_2) | instskip(SKIP_4) | instid1(VALU_DEP_3)
	v_mad_u64_u32 v[3:4], null, s2, s17, v[0:1]
	s_lshl_b64 s[10:11], s[6:7], 3
	v_mov_b32_e32 v1, 0
	v_dual_mov_b32 v2, 0 :: v_dual_mov_b32 v7, v0
	s_mov_b32 s23, 0
	v_ashrrev_i32_e32 v4, 31, v3
	s_delay_alu instid0(VALU_DEP_1) | instskip(SKIP_3) | instid1(VALU_DEP_3)
	v_lshlrev_b64 v[5:6], 3, v[3:4]
	v_add_co_u32 v3, vcc_lo, v14, s10
	v_add_co_ci_u32_e32 v4, vcc_lo, s11, v15, vcc_lo
	s_mov_b64 s[10:11], 0
	v_add_co_u32 v5, vcc_lo, s45, v5
	s_delay_alu instid0(VALU_DEP_4)
	v_add_co_ci_u32_e32 v6, vcc_lo, s46, v6, vcc_lo
	s_set_inst_prefetch_distance 0x1
	.p2align	6
.LBB24_26:                              ;   Parent Loop BB24_6 Depth=1
                                        ; =>  This Inner Loop Header: Depth=2
	v_add_co_u32 v8, vcc_lo, v3, s10
	v_add_co_ci_u32_e32 v9, vcc_lo, s11, v4, vcc_lo
	v_add_co_u32 v10, vcc_lo, v5, s10
	v_add_co_ci_u32_e32 v11, vcc_lo, s11, v6, vcc_lo
	v_add_nc_u32_e32 v7, s39, v7
	global_load_b64 v[8:9], v[8:9], off
	global_load_b64 v[20:21], v[10:11], off
	s_add_u32 s10, s10, s47
	s_addc_u32 s11, s11, 0
	s_waitcnt vmcnt(0)
	v_div_scale_f64 v[22:23], null, v[20:21], v[20:21], v[8:9]
	v_div_scale_f64 v[28:29], vcc_lo, v[8:9], v[20:21], v[8:9]
	s_delay_alu instid0(VALU_DEP_2) | instskip(SKIP_2) | instid1(VALU_DEP_1)
	v_rcp_f64_e32 v[24:25], v[22:23]
	s_waitcnt_depctr 0xfff
	v_fma_f64 v[26:27], -v[22:23], v[24:25], 1.0
	v_fma_f64 v[24:25], v[24:25], v[26:27], v[24:25]
	s_delay_alu instid0(VALU_DEP_1) | instskip(NEXT) | instid1(VALU_DEP_1)
	v_fma_f64 v[26:27], -v[22:23], v[24:25], 1.0
	v_fma_f64 v[24:25], v[24:25], v[26:27], v[24:25]
	s_delay_alu instid0(VALU_DEP_1) | instskip(NEXT) | instid1(VALU_DEP_1)
	v_mul_f64 v[26:27], v[28:29], v[24:25]
	v_fma_f64 v[22:23], -v[22:23], v[26:27], v[28:29]
	s_delay_alu instid0(VALU_DEP_1) | instskip(SKIP_2) | instid1(VALU_DEP_2)
	v_div_fmas_f64 v[22:23], v[22:23], v[24:25], v[26:27]
	v_cmp_le_i32_e32 vcc_lo, s22, v7
	s_or_b32 s23, vcc_lo, s23
	v_div_fixup_f64 v[8:9], v[22:23], v[20:21], v[8:9]
	s_delay_alu instid0(VALU_DEP_1)
	v_fma_f64 v[1:2], v[8:9], v[8:9], v[1:2]
	global_store_b64 v[10:11], v[8:9], off
	s_and_not1_b32 exec_lo, exec_lo, s23
	s_cbranch_execnz .LBB24_26
; %bb.27:                               ;   in Loop: Header=BB24_6 Depth=1
	s_set_inst_prefetch_distance 0x2
	s_or_b32 exec_lo, exec_lo, s23
.LBB24_28:                              ;   in Loop: Header=BB24_6 Depth=1
	s_delay_alu instid0(SALU_CYCLE_1) | instskip(NEXT) | instid1(SALU_CYCLE_1)
	s_or_b32 exec_lo, exec_lo, s3
	s_and_not1_b32 vcc_lo, exec_lo, s48
	s_mov_b32 s3, s39
	ds_store_b64 v13, v[1:2]
	s_waitcnt lgkmcnt(0)
	s_waitcnt_vscnt null, 0x0
	s_barrier
	buffer_gl0_inv
	s_cbranch_vccz .LBB24_45
.LBB24_29:                              ;   in Loop: Header=BB24_6 Depth=1
	ds_load_b64 v[1:2], v19
	s_load_b32 s10, s[8:9], 0x0
	s_waitcnt lgkmcnt(0)
	v_cmp_gt_f64_e32 vcc_lo, 0x10000000, v[1:2]
	v_cndmask_b32_e64 v3, 0, 1, vcc_lo
	s_and_b32 s3, vcc_lo, exec_lo
	s_cselect_b32 s3, 0xffffff80, 0
	s_delay_alu instid0(VALU_DEP_1) | instskip(NEXT) | instid1(VALU_DEP_1)
	v_lshlrev_b32_e32 v3, 8, v3
	v_ldexp_f64 v[1:2], v[1:2], v3
	s_delay_alu instid0(VALU_DEP_1) | instskip(SKIP_4) | instid1(VALU_DEP_1)
	v_rsq_f64_e32 v[3:4], v[1:2]
	v_cmp_class_f64_e64 vcc_lo, v[1:2], 0x260
	s_waitcnt_depctr 0xfff
	v_mul_f64 v[5:6], v[1:2], v[3:4]
	v_mul_f64 v[3:4], v[3:4], 0.5
	v_fma_f64 v[7:8], -v[3:4], v[5:6], 0.5
	s_delay_alu instid0(VALU_DEP_1) | instskip(SKIP_1) | instid1(VALU_DEP_2)
	v_fma_f64 v[5:6], v[5:6], v[7:8], v[5:6]
	v_fma_f64 v[3:4], v[3:4], v[7:8], v[3:4]
	v_fma_f64 v[7:8], -v[5:6], v[5:6], v[1:2]
	s_delay_alu instid0(VALU_DEP_1) | instskip(NEXT) | instid1(VALU_DEP_1)
	v_fma_f64 v[5:6], v[7:8], v[3:4], v[5:6]
	v_fma_f64 v[7:8], -v[5:6], v[5:6], v[1:2]
	s_delay_alu instid0(VALU_DEP_1) | instskip(NEXT) | instid1(VALU_DEP_1)
	v_fma_f64 v[3:4], v[7:8], v[3:4], v[5:6]
	v_ldexp_f64 v[3:4], v[3:4], s3
	s_delay_alu instid0(VALU_DEP_1)
	v_dual_cndmask_b32 v2, v4, v2 :: v_dual_cndmask_b32 v1, v3, v1
.LBB24_30:                              ;   in Loop: Header=BB24_6 Depth=1
	s_add_i32 s1, s1, s37
	s_delay_alu instid0(SALU_CYCLE_1) | instskip(NEXT) | instid1(SALU_CYCLE_1)
	s_lshl_b32 s1, 1, s1
	s_ashr_i32 s3, s1, 31
	s_delay_alu instid0(SALU_CYCLE_1) | instskip(NEXT) | instid1(SALU_CYCLE_1)
	s_add_i32 s1, s1, s3
	s_xor_b32 s1, s1, s3
	s_delay_alu instid0(SALU_CYCLE_1) | instskip(SKIP_1) | instid1(VALU_DEP_1)
	v_cvt_f32_u32_e32 v3, s1
	s_sub_i32 s9, 0, s1
	v_rcp_iflag_f32_e32 v3, v3
	s_waitcnt_depctr 0xfff
	v_mul_f32_e32 v3, 0x4f7ffffe, v3
	s_delay_alu instid0(VALU_DEP_1) | instskip(NEXT) | instid1(VALU_DEP_1)
	v_cvt_u32_f32_e32 v3, v3
	v_readfirstlane_b32 s8, v3
	s_delay_alu instid0(VALU_DEP_1) | instskip(NEXT) | instid1(SALU_CYCLE_1)
	s_mul_i32 s9, s9, s8
	s_mul_hi_u32 s9, s8, s9
	s_delay_alu instid0(SALU_CYCLE_1) | instskip(NEXT) | instid1(SALU_CYCLE_1)
	s_add_i32 s8, s8, s9
	s_mul_hi_u32 s8, s52, s8
	s_delay_alu instid0(SALU_CYCLE_1) | instskip(SKIP_2) | instid1(SALU_CYCLE_1)
	s_mul_i32 s9, s8, s1
	s_add_i32 s11, s8, 1
	s_sub_i32 s9, s52, s9
	s_sub_i32 s23, s9, s1
	s_cmp_ge_u32 s9, s1
	s_cselect_b32 s8, s11, s8
	s_cselect_b32 s9, s23, s9
	s_add_i32 s11, s8, 1
	s_cmp_ge_u32 s9, s1
	s_cselect_b32 s1, s11, s8
	s_xor_b32 s3, s51, s3
	s_delay_alu instid0(SALU_CYCLE_1) | instskip(NEXT) | instid1(SALU_CYCLE_1)
	s_xor_b32 s1, s1, s3
	s_sub_i32 s3, s1, s3
	s_cmp_lg_u32 s10, 1
	s_cselect_b32 s1, -1, 0
	s_cmp_lt_i32 s3, 0
	s_cselect_b32 s8, -1, 0
	s_delay_alu instid0(SALU_CYCLE_1) | instskip(NEXT) | instid1(SALU_CYCLE_1)
	s_or_b32 s1, s1, s8
	s_and_b32 vcc_lo, exec_lo, s1
	s_cbranch_vccnz .LBB24_5
; %bb.31:                               ;   in Loop: Header=BB24_6 Depth=1
	s_mul_i32 s9, s2, s17
	s_lshl_b64 s[10:11], s[6:7], 2
	v_add_nc_u32_e32 v3, s9, v0
	v_cmp_gt_i32_e64 s1, s22, v0
	s_mov_b32 s7, 0
	s_delay_alu instid0(VALU_DEP_2) | instskip(NEXT) | instid1(VALU_DEP_1)
	v_ashrrev_i32_e32 v4, 31, v3
	v_lshlrev_b64 v[3:4], 3, v[3:4]
	s_delay_alu instid0(VALU_DEP_1) | instskip(NEXT) | instid1(VALU_DEP_2)
	v_add_co_u32 v3, vcc_lo, s45, v3
	v_add_co_ci_u32_e32 v4, vcc_lo, s46, v4, vcc_lo
	v_add_co_u32 v5, vcc_lo, v16, s10
	v_add_co_ci_u32_e32 v6, vcc_lo, s11, v17, vcc_lo
	s_branch .LBB24_33
.LBB24_32:                              ;   in Loop: Header=BB24_33 Depth=2
	s_or_b32 exec_lo, exec_lo, s2
	s_add_i32 s2, s7, 1
	s_cmp_lg_u32 s7, s3
	s_mov_b32 s7, s2
	s_waitcnt_vscnt null, 0x0
	s_barrier
	buffer_gl0_inv
	s_cbranch_scc0 .LBB24_5
.LBB24_33:                              ;   Parent Loop BB24_6 Depth=1
                                        ; =>  This Loop Header: Depth=2
                                        ;       Child Loop BB24_35 Depth 3
                                        ;       Child Loop BB24_38 Depth 3
	s_add_i32 s8, s7, s6
	s_cmp_lt_i32 s7, s15
	v_mov_b32_e32 v7, 0
	v_mov_b32_e32 v8, 0
	s_cselect_b32 s10, -1, 0
	s_delay_alu instid0(SALU_CYCLE_1) | instskip(NEXT) | instid1(SALU_CYCLE_1)
	s_and_b32 s2, s10, s1
	s_and_saveexec_b32 s11, s2
	s_cbranch_execz .LBB24_37
; %bb.34:                               ;   in Loop: Header=BB24_33 Depth=2
	v_dual_mov_b32 v7, 0 :: v_dual_mov_b32 v10, v6
	v_dual_mov_b32 v8, 0 :: v_dual_mov_b32 v9, v5
	v_dual_mov_b32 v12, v4 :: v_dual_mov_b32 v11, v3
	v_mov_b32_e32 v20, v0
	s_mov_b32 s23, 0
	.p2align	6
.LBB24_35:                              ;   Parent Loop BB24_6 Depth=1
                                        ;     Parent Loop BB24_33 Depth=2
                                        ; =>    This Inner Loop Header: Depth=3
	global_load_b32 v21, v[9:10], off
	v_add_nc_u32_e32 v20, s39, v20
	v_add_co_u32 v9, s2, v9, s49
	s_delay_alu instid0(VALU_DEP_1) | instskip(SKIP_2) | instid1(VALU_DEP_1)
	v_add_co_ci_u32_e64 v10, s2, 0, v10, s2
	s_waitcnt vmcnt(0)
	v_add_nc_u32_e32 v23, s6, v21
	v_mad_u64_u32 v[21:22], null, v23, s19, s[8:9]
	s_delay_alu instid0(VALU_DEP_1) | instskip(NEXT) | instid1(VALU_DEP_1)
	v_ashrrev_i32_e32 v22, 31, v21
	v_lshlrev_b64 v[21:22], 3, v[21:22]
	s_delay_alu instid0(VALU_DEP_1) | instskip(NEXT) | instid1(VALU_DEP_2)
	v_add_co_u32 v21, vcc_lo, s4, v21
	v_add_co_ci_u32_e32 v22, vcc_lo, s5, v22, vcc_lo
	global_load_b64 v[23:24], v[11:12], off
	flat_load_b64 v[21:22], v[21:22]
	v_add_co_u32 v11, vcc_lo, v11, s47
	v_add_co_ci_u32_e32 v12, vcc_lo, 0, v12, vcc_lo
	v_cmp_le_i32_e32 vcc_lo, s22, v20
	s_or_b32 s23, vcc_lo, s23
	s_waitcnt vmcnt(0) lgkmcnt(0)
	v_fma_f64 v[7:8], v[21:22], v[23:24], v[7:8]
	s_and_not1_b32 exec_lo, exec_lo, s23
	s_cbranch_execnz .LBB24_35
; %bb.36:                               ;   in Loop: Header=BB24_33 Depth=2
	s_or_b32 exec_lo, exec_lo, s23
.LBB24_37:                              ;   in Loop: Header=BB24_33 Depth=2
	s_delay_alu instid0(SALU_CYCLE_1) | instskip(NEXT) | instid1(SALU_CYCLE_1)
	s_or_b32 exec_lo, exec_lo, s11
	s_and_not1_b32 vcc_lo, exec_lo, s48
	s_mov_b32 s2, s39
	ds_store_b64 v13, v[7:8]
	s_waitcnt lgkmcnt(0)
	s_barrier
	buffer_gl0_inv
	s_cbranch_vccnz .LBB24_42
	.p2align	6
.LBB24_38:                              ;   Parent Loop BB24_6 Depth=1
                                        ;     Parent Loop BB24_33 Depth=2
                                        ; =>    This Inner Loop Header: Depth=3
	s_lshr_b32 s11, s2, 1
	s_delay_alu instid0(SALU_CYCLE_1) | instskip(SKIP_1) | instid1(SALU_CYCLE_1)
	v_cmp_gt_u32_e32 vcc_lo, s11, v0
	s_and_b32 s24, s10, vcc_lo
	s_and_saveexec_b32 s23, s24
	s_cbranch_execz .LBB24_40
; %bb.39:                               ;   in Loop: Header=BB24_38 Depth=3
	v_lshl_add_u32 v9, s11, 3, v13
	ds_load_b64 v[9:10], v9
	s_waitcnt lgkmcnt(0)
	v_add_f64 v[7:8], v[7:8], v[9:10]
	ds_store_b64 v13, v[7:8]
.LBB24_40:                              ;   in Loop: Header=BB24_38 Depth=3
	s_or_b32 exec_lo, exec_lo, s23
	s_cmp_lt_u32 s2, 4
	s_waitcnt lgkmcnt(0)
	s_barrier
	buffer_gl0_inv
	s_cbranch_scc1 .LBB24_42
; %bb.41:                               ;   in Loop: Header=BB24_38 Depth=3
	s_mov_b32 s2, s11
	s_branch .LBB24_38
.LBB24_42:                              ;   in Loop: Header=BB24_33 Depth=2
	s_and_b32 s10, s0, s10
	s_delay_alu instid0(SALU_CYCLE_1)
	s_and_saveexec_b32 s2, s10
	s_cbranch_execz .LBB24_32
; %bb.43:                               ;   in Loop: Header=BB24_33 Depth=2
	v_div_scale_f64 v[9:10], null, v[1:2], v[1:2], v[7:8]
	s_add_i32 s10, s8, s9
	s_delay_alu instid0(SALU_CYCLE_1) | instskip(NEXT) | instid1(SALU_CYCLE_1)
	s_ashr_i32 s11, s10, 31
	s_lshl_b64 s[10:11], s[10:11], 3
	s_delay_alu instid0(SALU_CYCLE_1) | instskip(SKIP_1) | instid1(VALU_DEP_1)
	s_add_u32 s10, s34, s10
	s_addc_u32 s11, s35, s11
	v_rcp_f64_e32 v[11:12], v[9:10]
	s_waitcnt_depctr 0xfff
	v_fma_f64 v[20:21], -v[9:10], v[11:12], 1.0
	s_delay_alu instid0(VALU_DEP_1) | instskip(NEXT) | instid1(VALU_DEP_1)
	v_fma_f64 v[11:12], v[11:12], v[20:21], v[11:12]
	v_fma_f64 v[20:21], -v[9:10], v[11:12], 1.0
	s_delay_alu instid0(VALU_DEP_1) | instskip(SKIP_1) | instid1(VALU_DEP_1)
	v_fma_f64 v[11:12], v[11:12], v[20:21], v[11:12]
	v_div_scale_f64 v[20:21], vcc_lo, v[7:8], v[1:2], v[7:8]
	v_mul_f64 v[22:23], v[20:21], v[11:12]
	s_delay_alu instid0(VALU_DEP_1) | instskip(NEXT) | instid1(VALU_DEP_1)
	v_fma_f64 v[9:10], -v[9:10], v[22:23], v[20:21]
	v_div_fmas_f64 v[9:10], v[9:10], v[11:12], v[22:23]
	s_delay_alu instid0(VALU_DEP_1)
	v_div_fixup_f64 v[7:8], v[9:10], v[1:2], v[7:8]
	global_store_b64 v19, v[7:8], s[10:11]
	s_branch .LBB24_32
	.p2align	6
.LBB24_44:                              ;   in Loop: Header=BB24_45 Depth=2
	s_or_b32 exec_lo, exec_lo, s11
	s_cmp_lt_u32 s3, 4
	s_mov_b32 s3, s10
	s_waitcnt lgkmcnt(0)
	s_barrier
	buffer_gl0_inv
	s_cbranch_scc1 .LBB24_29
.LBB24_45:                              ;   Parent Loop BB24_6 Depth=1
                                        ; =>  This Inner Loop Header: Depth=2
	s_lshr_b32 s10, s3, 1
	s_mov_b32 s11, exec_lo
	v_cmpx_gt_u32_e64 s10, v0
	s_cbranch_execz .LBB24_44
; %bb.46:                               ;   in Loop: Header=BB24_45 Depth=2
	v_lshl_add_u32 v3, s10, 3, v13
	ds_load_b64 v[3:4], v3
	s_waitcnt lgkmcnt(0)
	v_add_f64 v[1:2], v[1:2], v[3:4]
	ds_store_b64 v13, v[1:2]
	s_branch .LBB24_44
.LBB24_47:
	s_endpgm
	.section	.rodata,"a",@progbits
	.p2align	6, 0x0
	.amdhsa_kernel _ZN9rocsolver6v33100L26stedcx_mergeVectors_kernelILb0EdEEviiPT0_lS3_lS3_iilS3_S3_Pi
		.amdhsa_group_segment_fixed_size 0
		.amdhsa_private_segment_fixed_size 0
		.amdhsa_kernarg_size 344
		.amdhsa_user_sgpr_count 13
		.amdhsa_user_sgpr_dispatch_ptr 0
		.amdhsa_user_sgpr_queue_ptr 0
		.amdhsa_user_sgpr_kernarg_segment_ptr 1
		.amdhsa_user_sgpr_dispatch_id 0
		.amdhsa_user_sgpr_private_segment_size 0
		.amdhsa_wavefront_size32 1
		.amdhsa_uses_dynamic_stack 0
		.amdhsa_enable_private_segment 0
		.amdhsa_system_sgpr_workgroup_id_x 1
		.amdhsa_system_sgpr_workgroup_id_y 1
		.amdhsa_system_sgpr_workgroup_id_z 1
		.amdhsa_system_sgpr_workgroup_info 0
		.amdhsa_system_vgpr_workitem_id 0
		.amdhsa_next_free_vgpr 30
		.amdhsa_next_free_sgpr 56
		.amdhsa_reserve_vcc 1
		.amdhsa_float_round_mode_32 0
		.amdhsa_float_round_mode_16_64 0
		.amdhsa_float_denorm_mode_32 3
		.amdhsa_float_denorm_mode_16_64 3
		.amdhsa_dx10_clamp 1
		.amdhsa_ieee_mode 1
		.amdhsa_fp16_overflow 0
		.amdhsa_workgroup_processor_mode 1
		.amdhsa_memory_ordered 1
		.amdhsa_forward_progress 0
		.amdhsa_shared_vgpr_count 0
		.amdhsa_exception_fp_ieee_invalid_op 0
		.amdhsa_exception_fp_denorm_src 0
		.amdhsa_exception_fp_ieee_div_zero 0
		.amdhsa_exception_fp_ieee_overflow 0
		.amdhsa_exception_fp_ieee_underflow 0
		.amdhsa_exception_fp_ieee_inexact 0
		.amdhsa_exception_int_div_zero 0
	.end_amdhsa_kernel
	.section	.text._ZN9rocsolver6v33100L26stedcx_mergeVectors_kernelILb0EdEEviiPT0_lS3_lS3_iilS3_S3_Pi,"axG",@progbits,_ZN9rocsolver6v33100L26stedcx_mergeVectors_kernelILb0EdEEviiPT0_lS3_lS3_iilS3_S3_Pi,comdat
.Lfunc_end24:
	.size	_ZN9rocsolver6v33100L26stedcx_mergeVectors_kernelILb0EdEEviiPT0_lS3_lS3_iilS3_S3_Pi, .Lfunc_end24-_ZN9rocsolver6v33100L26stedcx_mergeVectors_kernelILb0EdEEviiPT0_lS3_lS3_iilS3_S3_Pi
                                        ; -- End function
	.section	.AMDGPU.csdata,"",@progbits
; Kernel info:
; codeLenInByte = 2960
; NumSgprs: 58
; NumVgprs: 30
; ScratchSize: 0
; MemoryBound: 0
; FloatMode: 240
; IeeeMode: 1
; LDSByteSize: 0 bytes/workgroup (compile time only)
; SGPRBlocks: 7
; VGPRBlocks: 3
; NumSGPRsForWavesPerEU: 58
; NumVGPRsForWavesPerEU: 30
; Occupancy: 16
; WaveLimiterHint : 1
; COMPUTE_PGM_RSRC2:SCRATCH_EN: 0
; COMPUTE_PGM_RSRC2:USER_SGPR: 13
; COMPUTE_PGM_RSRC2:TRAP_HANDLER: 0
; COMPUTE_PGM_RSRC2:TGID_X_EN: 1
; COMPUTE_PGM_RSRC2:TGID_Y_EN: 1
; COMPUTE_PGM_RSRC2:TGID_Z_EN: 1
; COMPUTE_PGM_RSRC2:TIDIG_COMP_CNT: 0
	.section	.text._ZN9rocsolver6v33100L25stedcx_mergeUpdate_kernelIdEEviiPT_lS3_iilS3_S3_Pi,"axG",@progbits,_ZN9rocsolver6v33100L25stedcx_mergeUpdate_kernelIdEEviiPT_lS3_iilS3_S3_Pi,comdat
	.globl	_ZN9rocsolver6v33100L25stedcx_mergeUpdate_kernelIdEEviiPT_lS3_iilS3_S3_Pi ; -- Begin function _ZN9rocsolver6v33100L25stedcx_mergeUpdate_kernelIdEEviiPT_lS3_iilS3_S3_Pi
	.p2align	8
	.type	_ZN9rocsolver6v33100L25stedcx_mergeUpdate_kernelIdEEviiPT_lS3_iilS3_S3_Pi,@function
_ZN9rocsolver6v33100L25stedcx_mergeUpdate_kernelIdEEviiPT_lS3_iilS3_S3_Pi: ; @_ZN9rocsolver6v33100L25stedcx_mergeUpdate_kernelIdEEviiPT_lS3_iilS3_S3_Pi
; %bb.0:
	s_clause 0x1
	s_load_b128 s[16:19], s[0:1], 0x18
	s_load_b256 s[4:11], s[0:1], 0x28
	s_waitcnt lgkmcnt(0)
	s_cmp_lg_u64 s[16:17], 0
	s_cbranch_scc0 .LBB25_27
; %bb.1:
	s_mul_i32 s2, s15, s5
	s_mul_hi_u32 s3, s15, s4
	s_ashr_i32 s25, s15, 31
	s_add_i32 s2, s3, s2
	s_mul_i32 s3, s25, s4
	s_ashr_i32 s5, s18, 31
	s_add_i32 s3, s2, s3
	s_mul_i32 s2, s15, s4
	s_mov_b32 s4, s18
	s_lshl_b64 s[2:3], s[2:3], 3
	s_delay_alu instid0(SALU_CYCLE_1) | instskip(SKIP_2) | instid1(SALU_CYCLE_1)
	s_add_u32 s12, s16, s2
	s_addc_u32 s16, s17, s3
	s_lshl_b64 s[2:3], s[4:5], 3
	s_add_u32 s2, s12, s2
	s_addc_u32 s3, s16, s3
	s_cbranch_execnz .LBB25_3
.LBB25_2:
	s_ashr_i32 s25, s15, 31
                                        ; implicit-def: $sgpr2_sgpr3
.LBB25_3:
	s_load_b64 s[4:5], s[0:1], 0x0
	s_waitcnt lgkmcnt(0)
	s_mul_i32 s12, s5, 5
	s_mov_b32 s26, s5
	s_add_i32 s12, s12, 2
	s_delay_alu instid0(SALU_CYCLE_1) | instskip(NEXT) | instid1(SALU_CYCLE_1)
	s_mul_i32 s16, s12, s15
	s_ashr_i32 s17, s16, 31
	s_delay_alu instid0(SALU_CYCLE_1) | instskip(NEXT) | instid1(SALU_CYCLE_1)
	s_lshl_b64 s[20:21], s[16:17], 2
	s_add_u32 s12, s10, s20
	s_addc_u32 s18, s11, s21
	s_ashr_i32 s27, s5, 31
	s_delay_alu instid0(SALU_CYCLE_1) | instskip(NEXT) | instid1(SALU_CYCLE_1)
	s_lshl_b64 s[22:23], s[26:27], 2
	s_add_u32 s16, s12, s22
	s_addc_u32 s17, s18, s23
	s_load_b32 s24, s[16:17], 0x4
	s_waitcnt lgkmcnt(0)
	s_cmp_ge_i32 s14, s24
	s_cbranch_scc1 .LBB25_26
; %bb.4:
	s_clause 0x1
	s_load_b128 s[28:31], s[0:1], 0x8
	s_load_b32 s33, s[0:1], 0x54
	v_mov_b32_e32 v4, 0
	s_waitcnt lgkmcnt(0)
	s_mul_i32 s0, s15, s31
	s_mul_hi_u32 s1, s15, s30
	s_mul_i32 s25, s25, s30
	s_add_i32 s1, s1, s0
	s_mul_i32 s0, s15, s30
	s_add_i32 s1, s1, s25
	s_mul_i32 s15, s15, s5
	s_lshl_b64 s[0:1], s[0:1], 3
	s_delay_alu instid0(SALU_CYCLE_1)
	s_add_u32 s25, s28, s0
	s_addc_u32 s28, s29, s1
	s_add_u32 s29, s16, s22
	s_addc_u32 s30, s17, s23
	;; [unrolled: 2-line block ×3, first 2 shown]
	s_lshl_b32 s0, s15, 1
	s_delay_alu instid0(SALU_CYCLE_1) | instskip(NEXT) | instid1(SALU_CYCLE_1)
	s_ashr_i32 s1, s0, 31
	s_lshl_b64 s[34:35], s[0:1], 3
	s_delay_alu instid0(SALU_CYCLE_1) | instskip(SKIP_2) | instid1(SALU_CYCLE_1)
	s_add_u32 s1, s6, s34
	s_addc_u32 s15, s7, s35
	s_lshl_b64 s[6:7], s[26:27], 3
	s_add_u32 s26, s1, s6
	s_addc_u32 s27, s15, s7
	s_lshl_b32 s31, 2, s4
	s_mul_i32 s6, s0, s5
	v_cvt_f32_u32_e32 v1, s31
	s_ashr_i32 s7, s6, 31
	s_and_b32 s33, 0xffff, s33
	s_ashr_i32 s34, s13, 31
	s_abs_i32 s35, s13
	v_rcp_iflag_f32_e32 v1, v1
	s_add_u32 s36, s36, 8
	s_addc_u32 s37, s37, 0
	s_add_u32 s1, s22, s20
	s_addc_u32 s15, s23, s21
	;; [unrolled: 2-line block ×3, first 2 shown]
	s_add_u32 s38, s1, 8
	v_cmp_eq_u32_e64 s0, 0, v0
	s_addc_u32 s39, s10, 0
	s_waitcnt_depctr 0xfff
	v_mul_f32_e32 v1, 0x4f7ffffe, v1
	s_lshl_b64 s[6:7], s[6:7], 3
	s_lshl_b32 s40, s33, 3
	s_add_u32 s41, s8, s6
	s_addc_u32 s42, s9, s7
	v_cvt_u32_f32_e32 v5, v1
	s_sub_i32 s43, 0, s31
	s_branch .LBB25_7
.LBB25_5:                               ;   in Loop: Header=BB25_7 Depth=1
	s_or_b32 exec_lo, exec_lo, s8
.LBB25_6:                               ;   in Loop: Header=BB25_7 Depth=1
	s_add_i32 s14, s14, 8
	s_delay_alu instid0(SALU_CYCLE_1)
	s_cmp_ge_i32 s14, s24
	s_cbranch_scc1 .LBB25_26
.LBB25_7:                               ; =>This Loop Header: Depth=1
                                        ;     Child Loop BB25_15 Depth 2
                                        ;     Child Loop BB25_18 Depth 2
	;; [unrolled: 1-line block ×3, first 2 shown]
	s_ashr_i32 s15, s14, 31
	s_delay_alu instid0(SALU_CYCLE_1)
	s_lshl_b64 s[6:7], s[14:15], 2
	s_waitcnt vmcnt(0) lgkmcnt(0)
	s_waitcnt_vscnt null, 0x0
	s_barrier
	s_add_u32 s6, s12, s6
	s_addc_u32 s7, s18, s7
	buffer_gl0_inv
	global_load_b64 v[1:2], v4, s[6:7]
	s_mov_b32 s7, 0
	s_waitcnt vmcnt(0)
	v_readfirstlane_b32 s6, v1
	v_readfirstlane_b32 s1, v2
	s_delay_alu instid0(VALU_DEP_1) | instskip(NEXT) | instid1(SALU_CYCLE_1)
	s_sub_i32 s1, s1, s6
	s_cmp_lt_i32 s1, 3
	s_cbranch_scc1 .LBB25_12
; %bb.8:                                ;   in Loop: Header=BB25_7 Depth=1
	s_cmp_lt_u32 s1, 5
	s_mov_b32 s7, 1
	s_cbranch_scc1 .LBB25_12
; %bb.9:                                ;   in Loop: Header=BB25_7 Depth=1
	s_cmp_lt_u32 s1, 33
	s_mov_b32 s7, 2
	s_cbranch_scc1 .LBB25_12
; %bb.10:                               ;   in Loop: Header=BB25_7 Depth=1
	s_cmpk_lt_u32 s1, 0xe9
	s_mov_b32 s7, 4
	s_cbranch_scc1 .LBB25_12
; %bb.11:                               ;   in Loop: Header=BB25_7 Depth=1
	s_cmpk_lt_u32 s1, 0x128
	s_cselect_b32 s7, 5, 7
	s_cmpk_lt_u32 s1, 0x79b
	s_cselect_b32 s7, s7, 8
.LBB25_12:                              ;   in Loop: Header=BB25_7 Depth=1
	s_delay_alu instid0(SALU_CYCLE_1) | instskip(SKIP_4) | instid1(SALU_CYCLE_1)
	s_lshl_b32 s8, 1, s7
	s_add_i32 s1, s1, -1
	v_cvt_f32_u32_e32 v1, s8
	s_sub_i32 s10, 0, s8
	s_ashr_i32 s11, s1, 31
	s_add_i32 s1, s1, s11
	s_delay_alu instid0(VALU_DEP_1) | instskip(SKIP_3) | instid1(VALU_DEP_1)
	v_rcp_iflag_f32_e32 v1, v1
	s_xor_b32 s1, s1, s11
	s_waitcnt_depctr 0xfff
	v_mul_f32_e32 v1, 0x4f7ffffe, v1
	v_cvt_u32_f32_e32 v1, v1
	s_delay_alu instid0(VALU_DEP_1) | instskip(NEXT) | instid1(VALU_DEP_1)
	v_readfirstlane_b32 s9, v1
	s_mul_i32 s10, s10, s9
	s_delay_alu instid0(SALU_CYCLE_1) | instskip(NEXT) | instid1(SALU_CYCLE_1)
	s_mul_hi_u32 s10, s9, s10
	s_add_i32 s9, s9, s10
	s_delay_alu instid0(SALU_CYCLE_1) | instskip(NEXT) | instid1(SALU_CYCLE_1)
	s_mul_hi_u32 s9, s1, s9
	s_mul_i32 s10, s9, s8
	s_delay_alu instid0(SALU_CYCLE_1)
	s_sub_i32 s1, s1, s10
	s_add_i32 s10, s9, 1
	s_sub_i32 s15, s1, s8
	s_cmp_ge_u32 s1, s8
	s_cselect_b32 s9, s10, s9
	s_cselect_b32 s1, s15, s1
	s_add_i32 s10, s9, 1
	s_cmp_ge_u32 s1, s8
	s_cselect_b32 s1, s10, s9
	s_delay_alu instid0(SALU_CYCLE_1) | instskip(NEXT) | instid1(SALU_CYCLE_1)
	s_xor_b32 s1, s1, s11
	s_sub_i32 s1, s1, s11
	s_delay_alu instid0(SALU_CYCLE_1) | instskip(NEXT) | instid1(SALU_CYCLE_1)
	s_add_i32 s1, s1, 1
	s_lshl_b32 s8, s1, s7
	s_delay_alu instid0(SALU_CYCLE_1) | instskip(SKIP_3) | instid1(SALU_CYCLE_1)
	s_cmp_ge_i32 s13, s8
	s_cselect_b32 s8, -1, 0
	s_cmp_le_i32 s7, s4
	s_cselect_b32 s7, -1, 0
	s_or_b32 s7, s7, s8
	s_delay_alu instid0(SALU_CYCLE_1)
	s_and_b32 vcc_lo, exec_lo, s7
	s_cbranch_vccnz .LBB25_6
; %bb.13:                               ;   in Loop: Header=BB25_7 Depth=1
	s_ashr_i32 s7, s6, 31
	s_delay_alu instid0(SALU_CYCLE_1) | instskip(NEXT) | instid1(SALU_CYCLE_1)
	s_lshl_b64 s[6:7], s[6:7], 2
	s_add_u32 s15, s16, s6
	s_addc_u32 s21, s17, s7
	s_add_u32 s46, s29, s6
	s_addc_u32 s47, s30, s7
	s_abs_i32 s8, s1
	s_delay_alu instid0(SALU_CYCLE_1) | instskip(SKIP_1) | instid1(VALU_DEP_1)
	v_cvt_f32_u32_e32 v1, s8
	s_sub_i32 s10, 0, s8
	v_rcp_iflag_f32_e32 v1, v1
	s_waitcnt_depctr 0xfff
	v_mul_f32_e32 v1, 0x4f7ffffe, v1
	s_delay_alu instid0(VALU_DEP_1) | instskip(NEXT) | instid1(VALU_DEP_1)
	v_cvt_u32_f32_e32 v1, v1
	v_readfirstlane_b32 s9, v1
	s_delay_alu instid0(VALU_DEP_1) | instskip(NEXT) | instid1(SALU_CYCLE_1)
	s_mul_i32 s10, s10, s9
	s_mul_hi_u32 s10, s9, s10
	s_delay_alu instid0(SALU_CYCLE_1)
	s_add_i32 s9, s9, s10
	s_ashr_i32 s10, s1, 31
	s_mul_hi_u32 s9, s35, s9
	s_xor_b32 s10, s34, s10
	s_mul_i32 s11, s9, s8
	s_add_i32 s20, s9, 1
	s_sub_i32 s11, s35, s11
	s_delay_alu instid0(SALU_CYCLE_1)
	s_sub_i32 s22, s11, s8
	s_cmp_ge_u32 s11, s8
	s_cselect_b32 s9, s20, s9
	s_cselect_b32 s11, s22, s11
	s_add_i32 s20, s9, 1
	s_cmp_ge_u32 s11, s8
	s_cselect_b32 s8, s20, s9
	v_readfirstlane_b32 s20, v5
	s_xor_b32 s8, s8, s10
	s_delay_alu instid0(SALU_CYCLE_1) | instskip(NEXT) | instid1(SALU_CYCLE_1)
	s_sub_i32 s8, s8, s10
	s_ashr_i32 s9, s8, 31
	s_delay_alu instid0(VALU_DEP_1)
	s_mul_i32 s44, s43, s20
	s_lshl_b64 s[10:11], s[8:9], 2
	s_mul_hi_u32 s44, s20, s44
	s_add_u32 s22, s46, s10
	s_addc_u32 s23, s47, s11
	s_add_i32 s45, s8, s9
	s_add_i32 s20, s20, s44
	s_xor_b32 s45, s45, s9
	s_delay_alu instid0(SALU_CYCLE_1) | instskip(NEXT) | instid1(SALU_CYCLE_1)
	s_mul_hi_u32 s20, s45, s20
	s_mul_i32 s20, s20, s31
	s_delay_alu instid0(SALU_CYCLE_1) | instskip(NEXT) | instid1(SALU_CYCLE_1)
	s_sub_i32 s20, s45, s20
	s_sub_i32 s44, s20, s31
	s_cmp_ge_u32 s20, s31
	s_cselect_b32 s20, s44, s20
	s_delay_alu instid0(SALU_CYCLE_1) | instskip(SKIP_2) | instid1(SALU_CYCLE_1)
	s_sub_i32 s44, s20, s31
	s_cmp_ge_u32 s20, s31
	s_cselect_b32 s20, s44, s20
	s_xor_b32 s20, s20, s9
	s_delay_alu instid0(SALU_CYCLE_1) | instskip(NEXT) | instid1(SALU_CYCLE_1)
	s_sub_i32 s20, s20, s9
	s_sub_i32 s44, s8, s20
	s_delay_alu instid0(SALU_CYCLE_1) | instskip(NEXT) | instid1(SALU_CYCLE_1)
	s_ashr_i32 s45, s44, 31
	s_lshl_b64 s[44:45], s[44:45], 2
	s_delay_alu instid0(SALU_CYCLE_1)
	s_add_u32 s44, s46, s44
	s_addc_u32 s45, s47, s45
	s_add_u32 s46, s15, s10
	s_addc_u32 s47, s21, s11
	s_clause 0x2
	global_load_b32 v2, v4, s[46:47] offset:8
	global_load_b32 v1, v4, s[22:23] offset:8
	;; [unrolled: 1-line block ×3, first 2 shown]
	s_cmp_lt_i32 s20, 1
	s_waitcnt vmcnt(2)
	v_mov_b32_e32 v7, v2
	s_cbranch_scc1 .LBB25_16
; %bb.14:                               ;   in Loop: Header=BB25_7 Depth=1
	s_add_i32 s9, s20, 1
	s_add_u32 s15, s6, s10
	s_addc_u32 s44, s7, s11
	s_ashr_i32 s21, s20, 31
	v_mov_b32_e32 v7, v2
	s_lshl_b64 s[22:23], s[20:21], 2
	s_delay_alu instid0(SALU_CYCLE_1)
	s_sub_u32 s15, s15, s22
	s_subb_u32 s21, s44, s23
	s_add_u32 s22, s38, s15
	s_addc_u32 s23, s39, s21
.LBB25_15:                              ;   Parent Loop BB25_7 Depth=1
                                        ; =>  This Inner Loop Header: Depth=2
	global_load_b32 v3, v4, s[22:23]
	s_add_i32 s9, s9, -1
	s_add_u32 s22, s22, 4
	s_addc_u32 s23, s23, 0
	s_cmp_lt_u32 s9, 2
	s_waitcnt vmcnt(0)
	v_add_nc_u32_e32 v7, v3, v7
	s_cbranch_scc0 .LBB25_15
.LBB25_16:                              ;   in Loop: Header=BB25_7 Depth=1
	s_not_b32 s9, s20
	s_delay_alu instid0(SALU_CYCLE_1) | instskip(NEXT) | instid1(SALU_CYCLE_1)
	s_add_i32 s22, s31, s9
	s_cmp_lt_i32 s22, 1
	s_cbranch_scc1 .LBB25_19
; %bb.17:                               ;   in Loop: Header=BB25_7 Depth=1
	s_ashr_i32 s23, s22, 31
	s_delay_alu instid0(SALU_CYCLE_1) | instskip(NEXT) | instid1(SALU_CYCLE_1)
	s_lshl_b64 s[22:23], s[22:23], 2
	s_add_u32 s6, s6, s22
	s_addc_u32 s7, s7, s23
	s_add_u32 s6, s6, s10
	s_addc_u32 s7, s7, s11
	;; [unrolled: 2-line block ×3, first 2 shown]
	s_sub_i32 s9, s31, s20
.LBB25_18:                              ;   Parent Loop BB25_7 Depth=1
                                        ; =>  This Inner Loop Header: Depth=2
	global_load_b32 v3, v4, s[6:7]
	s_add_u32 s6, s6, -4
	s_addc_u32 s7, s7, -1
	s_add_i32 s9, s9, -1
	s_delay_alu instid0(SALU_CYCLE_1)
	s_cmp_lt_u32 s9, 2
	s_waitcnt vmcnt(0)
	v_add_nc_u32_e32 v7, v3, v7
	s_cbranch_scc0 .LBB25_18
.LBB25_19:                              ;   in Loop: Header=BB25_7 Depth=1
	s_mul_i32 s1, s8, s1
	s_delay_alu instid0(SALU_CYCLE_1) | instskip(NEXT) | instid1(SALU_CYCLE_1)
	s_sub_i32 s1, s13, s1
	v_cmp_lt_i32_e32 vcc_lo, s1, v2
	s_cbranch_vccz .LBB25_6
; %bb.20:                               ;   in Loop: Header=BB25_7 Depth=1
	s_waitcnt vmcnt(1)
	v_add_nc_u32_e32 v2, s1, v1
	s_delay_alu instid0(VALU_DEP_1) | instskip(NEXT) | instid1(VALU_DEP_1)
	v_ashrrev_i32_e32 v3, 31, v2
	v_lshlrev_b64 v[8:9], 2, v[2:3]
	s_delay_alu instid0(VALU_DEP_1) | instskip(NEXT) | instid1(VALU_DEP_2)
	v_add_co_u32 v8, vcc_lo, s36, v8
	v_add_co_ci_u32_e32 v9, vcc_lo, s37, v9, vcc_lo
	global_load_b32 v1, v[8:9], off
	s_waitcnt vmcnt(0)
	v_cmp_ne_u32_e32 vcc_lo, 1, v1
	s_cbranch_vccnz .LBB25_6
; %bb.21:                               ;   in Loop: Header=BB25_7 Depth=1
	s_and_saveexec_b32 s1, s0
	s_cbranch_execz .LBB25_23
; %bb.22:                               ;   in Loop: Header=BB25_7 Depth=1
	v_lshlrev_b64 v[8:9], 3, v[2:3]
	s_delay_alu instid0(VALU_DEP_1) | instskip(NEXT) | instid1(VALU_DEP_2)
	v_add_co_u32 v10, vcc_lo, s26, v8
	v_add_co_ci_u32_e32 v11, vcc_lo, s27, v9, vcc_lo
	v_add_co_u32 v8, vcc_lo, s25, v8
	v_add_co_ci_u32_e32 v9, vcc_lo, s28, v9, vcc_lo
	global_load_b64 v[10:11], v[10:11], off
	s_waitcnt vmcnt(0)
	global_store_b64 v[8:9], v[10:11], off
.LBB25_23:                              ;   in Loop: Header=BB25_7 Depth=1
	s_or_b32 exec_lo, exec_lo, s1
	s_delay_alu instid0(SALU_CYCLE_1)
	s_mov_b32 s8, exec_lo
	v_cmpx_lt_i32_e64 v0, v7
	s_cbranch_execz .LBB25_5
; %bb.24:                               ;   in Loop: Header=BB25_7 Depth=1
	v_add_nc_u32_e32 v1, v6, v0
	s_mov_b64 s[6:7], 0
	s_mov_b32 s9, 0
	s_delay_alu instid0(VALU_DEP_1) | instskip(SKIP_2) | instid1(VALU_DEP_3)
	v_mad_u64_u32 v[8:9], null, v2, s19, v[1:2]
	v_mad_u64_u32 v[10:11], null, v2, s5, v[1:2]
	v_add_nc_u32_e32 v2, v7, v6
	v_ashrrev_i32_e32 v9, 31, v8
	s_delay_alu instid0(VALU_DEP_3) | instskip(NEXT) | instid1(VALU_DEP_2)
	v_ashrrev_i32_e32 v11, 31, v10
	v_lshlrev_b64 v[8:9], 3, v[8:9]
	s_delay_alu instid0(VALU_DEP_2) | instskip(NEXT) | instid1(VALU_DEP_2)
	v_lshlrev_b64 v[10:11], 3, v[10:11]
	v_add_co_u32 v3, vcc_lo, s2, v8
	s_delay_alu instid0(VALU_DEP_3) | instskip(NEXT) | instid1(VALU_DEP_3)
	v_add_co_ci_u32_e32 v6, vcc_lo, s3, v9, vcc_lo
	v_add_co_u32 v7, vcc_lo, s41, v10
	s_delay_alu instid0(VALU_DEP_4)
	v_add_co_ci_u32_e32 v8, vcc_lo, s42, v11, vcc_lo
	.p2align	6
.LBB25_25:                              ;   Parent Loop BB25_7 Depth=1
                                        ; =>  This Inner Loop Header: Depth=2
	s_delay_alu instid0(VALU_DEP_2) | instskip(NEXT) | instid1(VALU_DEP_2)
	v_add_co_u32 v9, vcc_lo, v7, s6
	v_add_co_ci_u32_e32 v10, vcc_lo, s7, v8, vcc_lo
	v_add_nc_u32_e32 v1, s33, v1
	v_add_co_u32 v11, vcc_lo, v3, s6
	global_load_b64 v[9:10], v[9:10], off
	v_add_co_ci_u32_e32 v12, vcc_lo, s7, v6, vcc_lo
	v_cmp_ge_i32_e64 s1, v1, v2
	s_add_u32 s6, s6, s40
	s_addc_u32 s7, s7, 0
	s_delay_alu instid0(VALU_DEP_1)
	s_or_b32 s9, s1, s9
	s_waitcnt vmcnt(0)
	flat_store_b64 v[11:12], v[9:10]
	s_and_not1_b32 exec_lo, exec_lo, s9
	s_cbranch_execnz .LBB25_25
	s_branch .LBB25_5
.LBB25_26:
	s_endpgm
.LBB25_27:
                                        ; implicit-def: $sgpr2_sgpr3
                                        ; implicit-def: $sgpr24_sgpr25
	s_branch .LBB25_2
	.section	.rodata,"a",@progbits
	.p2align	6, 0x0
	.amdhsa_kernel _ZN9rocsolver6v33100L25stedcx_mergeUpdate_kernelIdEEviiPT_lS3_iilS3_S3_Pi
		.amdhsa_group_segment_fixed_size 0
		.amdhsa_private_segment_fixed_size 0
		.amdhsa_kernarg_size 328
		.amdhsa_user_sgpr_count 13
		.amdhsa_user_sgpr_dispatch_ptr 0
		.amdhsa_user_sgpr_queue_ptr 0
		.amdhsa_user_sgpr_kernarg_segment_ptr 1
		.amdhsa_user_sgpr_dispatch_id 0
		.amdhsa_user_sgpr_private_segment_size 0
		.amdhsa_wavefront_size32 1
		.amdhsa_uses_dynamic_stack 0
		.amdhsa_enable_private_segment 0
		.amdhsa_system_sgpr_workgroup_id_x 1
		.amdhsa_system_sgpr_workgroup_id_y 1
		.amdhsa_system_sgpr_workgroup_id_z 1
		.amdhsa_system_sgpr_workgroup_info 0
		.amdhsa_system_vgpr_workitem_id 0
		.amdhsa_next_free_vgpr 13
		.amdhsa_next_free_sgpr 48
		.amdhsa_reserve_vcc 1
		.amdhsa_float_round_mode_32 0
		.amdhsa_float_round_mode_16_64 0
		.amdhsa_float_denorm_mode_32 3
		.amdhsa_float_denorm_mode_16_64 3
		.amdhsa_dx10_clamp 1
		.amdhsa_ieee_mode 1
		.amdhsa_fp16_overflow 0
		.amdhsa_workgroup_processor_mode 1
		.amdhsa_memory_ordered 1
		.amdhsa_forward_progress 0
		.amdhsa_shared_vgpr_count 0
		.amdhsa_exception_fp_ieee_invalid_op 0
		.amdhsa_exception_fp_denorm_src 0
		.amdhsa_exception_fp_ieee_div_zero 0
		.amdhsa_exception_fp_ieee_overflow 0
		.amdhsa_exception_fp_ieee_underflow 0
		.amdhsa_exception_fp_ieee_inexact 0
		.amdhsa_exception_int_div_zero 0
	.end_amdhsa_kernel
	.section	.text._ZN9rocsolver6v33100L25stedcx_mergeUpdate_kernelIdEEviiPT_lS3_iilS3_S3_Pi,"axG",@progbits,_ZN9rocsolver6v33100L25stedcx_mergeUpdate_kernelIdEEviiPT_lS3_iilS3_S3_Pi,comdat
.Lfunc_end25:
	.size	_ZN9rocsolver6v33100L25stedcx_mergeUpdate_kernelIdEEviiPT_lS3_iilS3_S3_Pi, .Lfunc_end25-_ZN9rocsolver6v33100L25stedcx_mergeUpdate_kernelIdEEviiPT_lS3_iilS3_S3_Pi
                                        ; -- End function
	.section	.AMDGPU.csdata,"",@progbits
; Kernel info:
; codeLenInByte = 1672
; NumSgprs: 50
; NumVgprs: 13
; ScratchSize: 0
; MemoryBound: 0
; FloatMode: 240
; IeeeMode: 1
; LDSByteSize: 0 bytes/workgroup (compile time only)
; SGPRBlocks: 6
; VGPRBlocks: 1
; NumSGPRsForWavesPerEU: 50
; NumVGPRsForWavesPerEU: 13
; Occupancy: 16
; WaveLimiterHint : 1
; COMPUTE_PGM_RSRC2:SCRATCH_EN: 0
; COMPUTE_PGM_RSRC2:USER_SGPR: 13
; COMPUTE_PGM_RSRC2:TRAP_HANDLER: 0
; COMPUTE_PGM_RSRC2:TGID_X_EN: 1
; COMPUTE_PGM_RSRC2:TGID_Y_EN: 1
; COMPUTE_PGM_RSRC2:TGID_Z_EN: 1
; COMPUTE_PGM_RSRC2:TIDIG_COMP_CNT: 0
	.section	.text._ZN9rocsolver6v33100L23stedcx_synthesis_kernelIdEEv15rocblas_erange_iiiPT_lPiS4_lS4_iliS5_S4_S3_,"axG",@progbits,_ZN9rocsolver6v33100L23stedcx_synthesis_kernelIdEEv15rocblas_erange_iiiPT_lPiS4_lS4_iliS5_S4_S3_,comdat
	.globl	_ZN9rocsolver6v33100L23stedcx_synthesis_kernelIdEEv15rocblas_erange_iiiPT_lPiS4_lS4_iliS5_S4_S3_ ; -- Begin function _ZN9rocsolver6v33100L23stedcx_synthesis_kernelIdEEv15rocblas_erange_iiiPT_lPiS4_lS4_iliS5_S4_S3_
	.p2align	8
	.type	_ZN9rocsolver6v33100L23stedcx_synthesis_kernelIdEEv15rocblas_erange_iiiPT_lPiS4_lS4_iliS5_S4_S3_,@function
_ZN9rocsolver6v33100L23stedcx_synthesis_kernelIdEEv15rocblas_erange_iiiPT_lPiS4_lS4_iliS5_S4_S3_: ; @_ZN9rocsolver6v33100L23stedcx_synthesis_kernelIdEEv15rocblas_erange_iiiPT_lPiS4_lS4_iliS5_S4_S3_
; %bb.0:
	s_mov_b32 s22, s15
	s_clause 0x3
	s_load_b32 s2, s[0:1], 0x7c
	s_load_b256 s[12:19], s[0:1], 0x10
	s_load_b128 s[8:11], s[0:1], 0x30
	s_load_b128 s[4:7], s[0:1], 0x0
	s_ashr_i32 s23, s22, 31
	s_waitcnt lgkmcnt(0)
	s_and_b32 s33, s2, 0xffff
	s_mul_i32 s3, s22, s15
	s_mul_hi_u32 s15, s22, s14
	s_mul_i32 s20, s23, s14
	s_add_i32 s3, s15, s3
	s_mul_i32 s2, s22, s14
	s_add_i32 s3, s3, s20
	s_mul_i32 s9, s22, s9
	s_lshl_b64 s[2:3], s[2:3], 3
	s_mul_hi_u32 s14, s22, s8
	s_add_u32 s20, s12, s2
	s_mul_i32 s15, s23, s8
	s_addc_u32 s21, s13, s3
	s_add_i32 s3, s14, s9
	s_mul_i32 s2, s22, s8
	s_add_i32 s3, s3, s15
	s_delay_alu instid0(SALU_CYCLE_1) | instskip(NEXT) | instid1(SALU_CYCLE_1)
	s_lshl_b64 s[2:3], s[2:3], 3
	s_add_u32 s38, s18, s2
	s_addc_u32 s39, s19, s3
	s_lshl_b64 s[2:3], s[22:23], 2
	s_delay_alu instid0(SALU_CYCLE_1)
	s_add_u32 s8, s16, s2
	s_addc_u32 s9, s17, s3
	s_cmpk_lg_i32 s4, 0xe7
	s_mov_b32 s2, -1
	s_cbranch_scc0 .LBB26_52
; %bb.1:
	s_load_b128 s[16:19], s[0:1], 0x58
	s_mul_i32 s2, s5, 5
	s_mov_b32 s34, s5
	s_add_i32 s2, s2, 2
	s_mov_b32 s42, exec_lo
	s_mul_i32 s2, s2, s22
	s_delay_alu instid0(SALU_CYCLE_1) | instskip(NEXT) | instid1(SALU_CYCLE_1)
	s_ashr_i32 s3, s2, 31
	s_lshl_b64 s[2:3], s[2:3], 2
	s_waitcnt lgkmcnt(0)
	s_add_u32 s12, s16, s2
	s_addc_u32 s13, s17, s3
	s_ashr_i32 s35, s5, 31
	s_delay_alu instid0(SALU_CYCLE_1) | instskip(NEXT) | instid1(SALU_CYCLE_1)
	s_lshl_b64 s[2:3], s[34:35], 2
	s_add_u32 s43, s12, s2
	s_addc_u32 s44, s13, s3
	s_lshl_b32 s2, s5, 1
	s_delay_alu instid0(SALU_CYCLE_1) | instskip(NEXT) | instid1(SALU_CYCLE_1)
	s_ashr_i32 s3, s2, 31
	s_lshl_b64 s[2:3], s[2:3], 2
	s_delay_alu instid0(SALU_CYCLE_1)
	s_add_u32 s40, s43, s2
	s_addc_u32 s41, s44, s3
	v_cmpx_eq_u32_e32 0, v0
	s_cbranch_execz .LBB26_43
; %bb.2:
	s_lshl_b32 s45, s5, 2
	s_delay_alu instid0(SALU_CYCLE_1) | instskip(NEXT) | instid1(SALU_CYCLE_1)
	s_or_b32 s2, s45, 2
	s_mul_i32 s2, s2, s22
	s_delay_alu instid0(SALU_CYCLE_1) | instskip(NEXT) | instid1(SALU_CYCLE_1)
	s_ashr_i32 s3, s2, 31
	s_lshl_b64 s[2:3], s[2:3], 3
	s_delay_alu instid0(SALU_CYCLE_1)
	s_add_u32 s16, s18, s2
	s_addc_u32 s17, s19, s3
	s_cmp_gt_i32 s5, 0
	s_load_b128 s[12:15], s[16:17], 0x0
	s_cselect_b32 s3, -1, 0
	s_cmpk_eq_i32 s4, 0xe9
	s_cbranch_scc1 .LBB26_8
; %bb.3:
	s_mov_b32 s4, 0
	s_and_not1_b32 vcc_lo, exec_lo, s3
	s_mov_b32 s30, 0
	s_cbranch_vccnz .LBB26_9
; %bb.4:
	v_dual_mov_b32 v3, 0 :: v_dual_mov_b32 v4, 1
	s_add_u32 s24, s40, 8
	s_addc_u32 s25, s41, 0
	s_mov_b64 s[26:27], s[20:21]
	s_mov_b32 s28, s34
	s_set_inst_prefetch_distance 0x1
	s_branch .LBB26_6
	.p2align	6
.LBB26_5:                               ;   in Loop: Header=BB26_6 Depth=1
	s_add_i32 s28, s28, -1
	s_add_u32 s24, s24, 4
	s_addc_u32 s25, s25, 0
	s_add_u32 s26, s26, 8
	s_addc_u32 s27, s27, 0
	s_cmp_eq_u32 s28, 0
	s_cbranch_scc1 .LBB26_9
.LBB26_6:                               ; =>This Inner Loop Header: Depth=1
	global_load_b64 v[1:2], v3, s[26:27]
	global_store_b32 v3, v3, s[24:25]
	s_waitcnt vmcnt(0) lgkmcnt(0)
	v_cmp_nle_f64_e32 vcc_lo, s[12:13], v[1:2]
	v_cmp_nge_f64_e64 s2, s[14:15], v[1:2]
	s_delay_alu instid0(VALU_DEP_1) | instskip(NEXT) | instid1(SALU_CYCLE_1)
	s_or_b32 s2, vcc_lo, s2
	s_and_b32 vcc_lo, exec_lo, s2
	s_cbranch_vccnz .LBB26_5
; %bb.7:                                ;   in Loop: Header=BB26_6 Depth=1
	s_ashr_i32 s31, s30, 31
	s_delay_alu instid0(SALU_CYCLE_1)
	s_lshl_b64 s[36:37], s[30:31], 3
	s_add_i32 s30, s30, 1
	s_add_u32 s36, s38, s36
	s_addc_u32 s37, s39, s37
	s_clause 0x1
	global_store_b32 v3, v4, s[24:25]
	global_store_b64 v3, v[1:2], s[36:37]
	s_branch .LBB26_5
.LBB26_8:
	s_mov_b32 s4, -1
                                        ; implicit-def: $sgpr30
.LBB26_9:
	s_set_inst_prefetch_distance 0x2
	s_and_not1_b32 vcc_lo, exec_lo, s4
	s_cbranch_vccnz .LBB26_42
; %bb.10:
	s_lshl_b64 s[24:25], s[34:35], 3
	s_delay_alu instid0(SALU_CYCLE_1)
	s_add_u32 s2, s16, s24
	s_addc_u32 s4, s17, s25
	s_add_u32 s26, s2, 24
	s_addc_u32 s27, s4, 0
	;; [unrolled: 2-line block ×3, first 2 shown]
	s_and_not1_b32 vcc_lo, exec_lo, s3
	s_cbranch_vccnz .LBB26_15
; %bb.11:
	s_add_u32 s30, s40, 8
	s_addc_u32 s31, s41, 0
	s_add_u32 s3, s43, 8
	v_dual_mov_b32 v3, 0 :: v_dual_mov_b32 v4, 1
	s_addc_u32 s4, s44, 0
	s_add_u32 s35, s46, -8
	s_addc_u32 s48, s47, -1
	s_mov_b32 s49, 0
	s_mov_b64 s[36:37], s[20:21]
	s_mov_b32 s28, 0
	s_set_inst_prefetch_distance 0x1
	s_branch .LBB26_13
	.p2align	6
.LBB26_12:                              ;   in Loop: Header=BB26_13 Depth=1
	s_add_i32 s49, s49, 1
	s_add_u32 s30, s30, 4
	s_addc_u32 s31, s31, 0
	s_add_u32 s36, s36, 8
	s_addc_u32 s37, s37, 0
	s_cmp_eq_u32 s5, s49
	s_cbranch_scc1 .LBB26_16
.LBB26_13:                              ; =>This Inner Loop Header: Depth=1
	global_load_b64 v[1:2], v3, s[36:37]
	global_store_b32 v3, v3, s[30:31]
	s_waitcnt vmcnt(0) lgkmcnt(0)
	v_cmp_nle_f64_e32 vcc_lo, s[12:13], v[1:2]
	v_cmp_nge_f64_e64 s2, s[14:15], v[1:2]
	s_delay_alu instid0(VALU_DEP_1) | instskip(NEXT) | instid1(SALU_CYCLE_1)
	s_or_b32 s2, vcc_lo, s2
	s_and_b32 vcc_lo, exec_lo, s2
	s_cbranch_vccnz .LBB26_12
; %bb.14:                               ;   in Loop: Header=BB26_13 Depth=1
	s_ashr_i32 s29, s28, 31
	s_add_i32 s2, s28, 1
	s_lshl_b64 s[50:51], s[28:29], 2
	v_mov_b32_e32 v5, s49
	s_add_u32 s50, s3, s50
	s_addc_u32 s51, s4, s51
	s_add_i32 s52, s28, s5
	global_store_b32 v3, v4, s[30:31]
	s_ashr_i32 s53, s52, 31
	s_delay_alu instid0(SALU_CYCLE_1) | instskip(NEXT) | instid1(SALU_CYCLE_1)
	s_lshl_b64 s[52:53], s[52:53], 3
	s_add_u32 s52, s35, s52
	s_addc_u32 s53, s48, s53
	s_lshl_b64 s[28:29], s[28:29], 3
	s_delay_alu instid0(SALU_CYCLE_1)
	s_add_u32 s54, s35, s28
	s_addc_u32 s55, s48, s29
	s_mov_b32 s28, s2
	s_clause 0x2
	global_store_b64 v3, v[1:2], s[54:55]
	global_store_b64 v3, v[1:2], s[52:53]
	global_store_b32 v3, v5, s[50:51]
	s_branch .LBB26_12
.LBB26_15:
	s_mov_b32 s28, 0
.LBB26_16:
	s_set_inst_prefetch_distance 0x2
	s_cmp_lt_i32 s28, 2
	s_mul_hi_i32 s50, s34, 24
	s_mul_i32 s51, s34, 24
	s_cbranch_scc1 .LBB26_23
; %bb.17:
	s_add_u32 s2, s46, s24
	s_addc_u32 s3, s47, s25
	s_add_u32 s4, s2, -8
	s_addc_u32 s29, s3, -1
	s_add_u32 s48, s2, -16
	s_addc_u32 s49, s3, -1
	s_add_i32 s2, s45, 2
	v_mov_b32_e32 v5, 0
	s_mul_i32 s2, s22, s2
	s_waitcnt lgkmcnt(0)
	s_mov_b32 s12, 1
	s_ashr_i32 s3, s2, 31
	s_delay_alu instid0(SALU_CYCLE_1) | instskip(NEXT) | instid1(SALU_CYCLE_1)
	s_lshl_b64 s[2:3], s[2:3], 3
	s_add_u32 s2, s51, s2
	s_addc_u32 s3, s50, s3
	s_add_u32 s2, s2, s18
	s_addc_u32 s3, s3, s19
	;; [unrolled: 2-line block ×3, first 2 shown]
	s_set_inst_prefetch_distance 0x1
	s_branch .LBB26_19
	.p2align	6
.LBB26_18:                              ;   in Loop: Header=BB26_19 Depth=1
	s_add_i32 s12, s12, 1
	s_add_u32 s2, s2, 8
	s_addc_u32 s3, s3, 0
	s_cmp_lg_u32 s12, s28
	s_cbranch_scc0 .LBB26_23
.LBB26_19:                              ; =>This Loop Header: Depth=1
                                        ;     Child Loop BB26_20 Depth 2
	s_ashr_i32 s13, s12, 31
	s_mov_b64 s[36:37], s[2:3]
	s_lshl_b64 s[30:31], s[12:13], 3
	s_add_i32 s13, s12, -1
	s_add_u32 s30, s48, s30
	s_addc_u32 s31, s49, s31
	s_mov_b32 s35, s12
	global_load_b64 v[1:2], v5, s[30:31]
	s_mov_b32 s34, s13
	s_waitcnt vmcnt(0)
	v_dual_mov_b32 v4, v2 :: v_dual_mov_b32 v3, v1
.LBB26_20:                              ;   Parent Loop BB26_19 Depth=1
                                        ; =>  This Inner Loop Header: Depth=2
	global_load_b64 v[6:7], v5, s[36:37]
	s_waitcnt vmcnt(0)
	v_cmp_lt_f64_e32 vcc_lo, v[6:7], v[3:4]
	s_and_b32 s52, vcc_lo, exec_lo
	v_dual_cndmask_b32 v4, v4, v7 :: v_dual_cndmask_b32 v3, v3, v6
	s_cselect_b32 s34, s35, s34
	s_add_i32 s35, s35, 1
	s_add_u32 s36, s36, 8
	s_addc_u32 s37, s37, 0
	s_cmp_ge_i32 s35, s28
	s_cbranch_scc0 .LBB26_20
; %bb.21:                               ;   in Loop: Header=BB26_19 Depth=1
	s_cmp_lg_u32 s34, s13
	s_cbranch_scc0 .LBB26_18
; %bb.22:                               ;   in Loop: Header=BB26_19 Depth=1
	s_ashr_i32 s35, s34, 31
	s_delay_alu instid0(SALU_CYCLE_1) | instskip(NEXT) | instid1(SALU_CYCLE_1)
	s_lshl_b64 s[34:35], s[34:35], 3
	s_add_u32 s34, s4, s34
	s_addc_u32 s35, s29, s35
	s_clause 0x1
	global_store_b64 v5, v[1:2], s[34:35]
	global_store_b64 v5, v[3:4], s[30:31]
	s_branch .LBB26_18
.LBB26_23:
	s_set_inst_prefetch_distance 0x2
	s_cmp_lt_i32 s28, 1
	s_cbranch_scc1 .LBB26_41
; %bb.24:
	s_add_i32 s4, s28, -1
	s_cmp_gt_i32 s5, 1
	v_mov_b32_e32 v9, 0
	s_cselect_b32 s29, -1, 0
	s_add_u32 s46, s46, -8
	s_addc_u32 s47, s47, -1
	s_add_u32 s43, s43, 8
	s_addc_u32 s44, s44, 0
	s_add_u32 s48, s40, 8
	s_addc_u32 s49, s41, 0
	s_add_i32 s45, s45, 2
	s_waitcnt lgkmcnt(0)
	s_mov_b32 s13, 0
	s_mul_i32 s2, s22, s45
	s_mov_b32 s30, s13
	s_ashr_i32 s3, s2, 31
	s_delay_alu instid0(SALU_CYCLE_1) | instskip(NEXT) | instid1(SALU_CYCLE_1)
	s_lshl_b64 s[2:3], s[2:3], 3
	s_add_u32 s2, s2, s18
	s_addc_u32 s3, s3, s19
	s_add_u32 s12, s2, s51
	s_addc_u32 s19, s3, s50
	;; [unrolled: 2-line block ×3, first 2 shown]
	s_add_i32 s45, s5, -1
	s_add_u32 s34, s2, 24
	s_addc_u32 s35, s3, 0
	s_mov_b32 s12, s13
	s_branch .LBB26_27
.LBB26_25:                              ;   in Loop: Header=BB26_27 Depth=1
	s_mov_b32 s30, s2
.LBB26_26:                              ;   in Loop: Header=BB26_27 Depth=1
	s_add_i32 s12, s12, 1
	s_delay_alu instid0(SALU_CYCLE_1)
	s_cmp_eq_u32 s12, s28
	s_cbranch_scc1 .LBB26_42
.LBB26_27:                              ; =>This Loop Header: Depth=1
                                        ;     Child Loop BB26_29 Depth 2
                                        ;     Child Loop BB26_36 Depth 2
	s_lshl_b64 s[2:3], s[12:13], 3
	s_mov_b64 s[36:37], s[18:19]
	s_add_u32 s2, s46, s2
	s_addc_u32 s3, s47, s3
	s_mov_b32 s50, s13
	global_load_b64 v[1:2], v9, s[2:3]
	s_branch .LBB26_29
	.p2align	6
.LBB26_28:                              ;   in Loop: Header=BB26_29 Depth=2
	s_add_i32 s50, s31, 1
	s_mov_b32 s51, 0
	s_cmp_eq_u32 s28, s50
	s_cselect_b32 s36, -1, 0
	s_delay_alu instid0(SALU_CYCLE_1)
	s_and_not1_b32 vcc_lo, exec_lo, s36
	s_mov_b64 s[36:37], s[2:3]
	s_cbranch_vccz .LBB26_31
.LBB26_29:                              ;   Parent Loop BB26_27 Depth=1
                                        ; =>  This Inner Loop Header: Depth=2
	global_load_b64 v[5:6], v9, s[36:37]
	s_add_u32 s2, s36, 8
	s_addc_u32 s3, s37, 0
	s_mov_b32 s31, s50
	s_waitcnt vmcnt(0)
	v_cmp_neq_f64_e32 vcc_lo, v[1:2], v[5:6]
	s_cbranch_vccnz .LBB26_28
; %bb.30:                               ;   in Loop: Header=BB26_27 Depth=1
	s_mov_b32 s51, -1
                                        ; implicit-def: $sgpr50
	s_mov_b64 s[36:37], s[2:3]
.LBB26_31:                              ;   in Loop: Header=BB26_27 Depth=1
	s_and_b32 vcc_lo, exec_lo, s51
	s_cbranch_vccz .LBB26_26
; %bb.32:                               ;   in Loop: Header=BB26_27 Depth=1
	v_dual_mov_b32 v7, s14 :: v_dual_mov_b32 v8, s15
	s_cmp_eq_u32 s31, s4
	s_cbranch_scc1 .LBB26_34
; %bb.33:                               ;   in Loop: Header=BB26_27 Depth=1
	global_load_b64 v[7:8], v9, s[2:3]
.LBB26_34:                              ;   in Loop: Header=BB26_27 Depth=1
	s_clause 0x1
	global_load_b64 v[10:11], v9, s[26:27] offset:-8
	global_load_b64 v[3:4], v9, s[16:17] offset:16
	s_waitcnt vmcnt(2)
	v_add_f64 v[5:6], v[7:8], -v[5:6]
	s_and_not1_b32 vcc_lo, exec_lo, s29
	s_delay_alu instid0(VALU_DEP_1) | instskip(SKIP_1) | instid1(VALU_DEP_1)
	v_fma_f64 v[5:6], v[5:6], 0.5, v[1:2]
	s_waitcnt vmcnt(1)
	v_add_f64 v[7:8], v[10:11], -v[5:6]
	s_waitcnt vmcnt(0)
	s_delay_alu instid0(VALU_DEP_1) | instskip(NEXT) | instid1(VALU_DEP_1)
	v_cmp_le_f64_e64 s2, v[7:8], v[3:4]
	v_cndmask_b32_e64 v10, 0, 1, s2
	s_delay_alu instid0(VALU_DEP_1)
	v_readfirstlane_b32 s3, v10
	s_cbranch_vccnz .LBB26_37
; %bb.35:                               ;   in Loop: Header=BB26_27 Depth=1
	v_cmp_gt_f64_e64 s31, v[7:8], -v[3:4]
	v_xor_b32_e32 v10, 0x80000000, v4
	s_mov_b64 s[36:37], s[34:35]
	s_delay_alu instid0(VALU_DEP_2) | instskip(SKIP_1) | instid1(VALU_DEP_1)
	s_and_b32 vcc_lo, s2, s31
	s_mov_b32 s31, s45
	v_dual_cndmask_b32 v8, v8, v10 :: v_dual_cndmask_b32 v7, v7, v3
	s_set_inst_prefetch_distance 0x1
	.p2align	6
.LBB26_36:                              ;   Parent Loop BB26_27 Depth=1
                                        ; =>  This Inner Loop Header: Depth=2
	s_add_u32 s50, s36, s24
	s_addc_u32 s51, s37, s25
	s_clause 0x1
	global_load_b64 v[11:12], v9, s[36:37]
	global_load_b64 v[13:14], v9, s[50:51]
	s_waitcnt vmcnt(1)
	v_div_scale_f64 v[15:16], null, v[7:8], v[7:8], v[11:12]
	v_div_scale_f64 v[21:22], vcc_lo, v[11:12], v[7:8], v[11:12]
	s_waitcnt vmcnt(0)
	v_add_f64 v[13:14], v[13:14], -v[5:6]
	s_delay_alu instid0(VALU_DEP_3) | instskip(SKIP_2) | instid1(VALU_DEP_1)
	v_rcp_f64_e32 v[17:18], v[15:16]
	s_waitcnt_depctr 0xfff
	v_fma_f64 v[19:20], -v[15:16], v[17:18], 1.0
	v_fma_f64 v[17:18], v[17:18], v[19:20], v[17:18]
	s_delay_alu instid0(VALU_DEP_1) | instskip(NEXT) | instid1(VALU_DEP_1)
	v_fma_f64 v[19:20], -v[15:16], v[17:18], 1.0
	v_fma_f64 v[17:18], v[17:18], v[19:20], v[17:18]
	s_delay_alu instid0(VALU_DEP_1) | instskip(NEXT) | instid1(VALU_DEP_1)
	v_mul_f64 v[19:20], v[21:22], v[17:18]
	v_fma_f64 v[15:16], -v[15:16], v[19:20], v[21:22]
	s_delay_alu instid0(VALU_DEP_1) | instskip(NEXT) | instid1(VALU_DEP_1)
	v_div_fmas_f64 v[15:16], v[15:16], v[17:18], v[19:20]
	v_div_fixup_f64 v[7:8], v[15:16], v[7:8], v[11:12]
	s_delay_alu instid0(VALU_DEP_1) | instskip(NEXT) | instid1(VALU_DEP_1)
	v_add_f64 v[7:8], v[13:14], -v[7:8]
	v_cmp_le_f64_e32 vcc_lo, v[7:8], v[3:4]
	v_cmp_gt_f64_e64 s2, v[7:8], -v[3:4]
	s_delay_alu instid0(VALU_DEP_1)
	s_and_b32 s2, vcc_lo, s2
	s_cmp_lg_u32 vcc_lo, 0
	v_cndmask_b32_e64 v8, v8, v10, s2
	v_cndmask_b32_e64 v7, v7, v3, s2
	s_addc_u32 s3, s3, 0
	s_add_i32 s31, s31, -1
	s_add_u32 s36, s36, 8
	s_addc_u32 s37, s37, 0
	s_cmp_lg_u32 s31, 0
	s_cbranch_scc1 .LBB26_36
.LBB26_37:                              ;   in Loop: Header=BB26_27 Depth=1
	s_set_inst_prefetch_distance 0x2
	s_delay_alu instid0(VALU_DEP_1) | instskip(SKIP_3) | instid1(SALU_CYCLE_1)
	s_cmp_lt_i32 s3, s6
	s_cselect_b32 s2, -1, 0
	s_cmp_gt_i32 s3, s7
	s_cselect_b32 s3, -1, 0
	s_or_b32 s2, s2, s3
	s_mov_b32 s3, -1
	s_and_b32 vcc_lo, exec_lo, s2
                                        ; implicit-def: $sgpr2
	s_cbranch_vccnz .LBB26_39
; %bb.38:                               ;   in Loop: Header=BB26_27 Depth=1
	s_ashr_i32 s31, s30, 31
	s_delay_alu instid0(SALU_CYCLE_1) | instskip(NEXT) | instid1(SALU_CYCLE_1)
	s_lshl_b64 s[2:3], s[30:31], 3
	s_add_u32 s36, s38, s2
	s_addc_u32 s37, s39, s3
	s_add_i32 s2, s30, 1
	s_mov_b32 s3, 0
	global_store_b64 v9, v[1:2], s[36:37]
.LBB26_39:                              ;   in Loop: Header=BB26_27 Depth=1
	s_and_not1_b32 vcc_lo, exec_lo, s3
	s_cbranch_vccnz .LBB26_25
; %bb.40:                               ;   in Loop: Header=BB26_27 Depth=1
	s_lshl_b64 s[2:3], s[12:13], 2
	s_delay_alu instid0(SALU_CYCLE_1)
	s_add_u32 s2, s43, s2
	s_addc_u32 s3, s44, s3
	global_load_b32 v1, v9, s[2:3]
	s_mov_b32 s2, s30
	s_waitcnt vmcnt(0)
	v_ashrrev_i32_e32 v2, 31, v1
	s_delay_alu instid0(VALU_DEP_1) | instskip(NEXT) | instid1(VALU_DEP_1)
	v_lshlrev_b64 v[1:2], 2, v[1:2]
	v_add_co_u32 v1, vcc_lo, s48, v1
	s_delay_alu instid0(VALU_DEP_2)
	v_add_co_ci_u32_e32 v2, vcc_lo, s49, v2, vcc_lo
	global_store_b32 v[1:2], v9, off
	s_branch .LBB26_25
.LBB26_41:
	s_mov_b32 s30, 0
.LBB26_42:
	s_delay_alu instid0(SALU_CYCLE_1)
	v_dual_mov_b32 v1, 0 :: v_dual_mov_b32 v2, s30
	global_store_b32 v1, v2, s[8:9]
.LBB26_43:
	s_or_b32 exec_lo, exec_lo, s42
	s_cmp_lt_i32 s5, 1
	s_waitcnt lgkmcnt(0)
	s_waitcnt_vscnt null, 0x0
	s_barrier
	buffer_gl0_inv
	s_cbranch_scc1 .LBB26_51
; %bb.44:
	s_clause 0x1
	s_load_b64 s[6:7], s[0:1], 0x48
	s_load_b32 s1, s[0:1], 0x40
	v_cmp_le_i32_e32 vcc_lo, s5, v0
	v_dual_mov_b32 v6, 0 :: v_dual_mov_b32 v1, v0
	s_mov_b32 s3, 0
	s_delay_alu instid0(SALU_CYCLE_1)
	s_mov_b32 s15, s3
	s_waitcnt lgkmcnt(0)
	s_mul_i32 s0, s22, s7
	s_mul_hi_u32 s2, s22, s6
	s_mul_i32 s4, s23, s6
	s_add_i32 s0, s2, s0
	s_mul_i32 s6, s22, s6
	s_add_i32 s7, s0, s4
	s_mov_b32 s2, s3
	s_lshl_b64 s[6:7], s[6:7], 3
	s_delay_alu instid0(SALU_CYCLE_1)
	s_add_u32 s6, s10, s6
	s_addc_u32 s7, s11, s7
	s_add_u32 s4, s40, 8
	s_addc_u32 s12, s41, 0
	s_lshl_b32 s13, s33, 3
	s_xor_b32 s14, vcc_lo, -1
	s_branch .LBB26_47
.LBB26_45:                              ;   in Loop: Header=BB26_47 Depth=1
	s_or_b32 exec_lo, exec_lo, s16
	s_add_i32 s15, s15, 1
.LBB26_46:                              ;   in Loop: Header=BB26_47 Depth=1
	v_add_nc_u32_e32 v1, s1, v1
	s_add_i32 s2, s2, 1
	s_waitcnt_vscnt null, 0x0
	s_cmp_lg_u32 s2, s5
	s_barrier
	buffer_gl0_inv
	s_cbranch_scc0 .LBB26_51
.LBB26_47:                              ; =>This Loop Header: Depth=1
                                        ;     Child Loop BB26_50 Depth 2
	s_lshl_b64 s[10:11], s[2:3], 2
	s_delay_alu instid0(SALU_CYCLE_1)
	s_add_u32 s10, s4, s10
	s_addc_u32 s11, s12, s11
	global_load_b32 v2, v6, s[10:11]
	s_waitcnt vmcnt(0)
	v_cmp_ne_u32_e32 vcc_lo, 1, v2
	s_cbranch_vccnz .LBB26_46
; %bb.48:                               ;   in Loop: Header=BB26_47 Depth=1
	s_cmp_lg_u32 s2, s15
	s_cselect_b32 s0, -1, 0
	s_delay_alu instid0(SALU_CYCLE_1) | instskip(NEXT) | instid1(SALU_CYCLE_1)
	s_and_b32 s0, s0, s14
	s_and_saveexec_b32 s16, s0
	s_cbranch_execz .LBB26_45
; %bb.49:                               ;   in Loop: Header=BB26_47 Depth=1
	v_mad_u64_u32 v[4:5], null, s15, s1, v[0:1]
	v_ashrrev_i32_e32 v2, 31, v1
	v_mov_b32_e32 v7, v0
	s_mov_b32 s17, 0
	s_mov_b64 s[10:11], s[6:7]
	s_delay_alu instid0(VALU_DEP_2) | instskip(NEXT) | instid1(VALU_DEP_4)
	v_lshlrev_b64 v[2:3], 3, v[1:2]
	v_ashrrev_i32_e32 v5, 31, v4
	s_delay_alu instid0(VALU_DEP_1)
	v_lshlrev_b64 v[4:5], 3, v[4:5]
	.p2align	6
.LBB26_50:                              ;   Parent Loop BB26_47 Depth=1
                                        ; =>  This Inner Loop Header: Depth=2
	s_delay_alu instid0(VALU_DEP_3) | instskip(NEXT) | instid1(VALU_DEP_4)
	v_add_co_u32 v8, vcc_lo, s10, v2
	v_add_co_ci_u32_e32 v9, vcc_lo, s11, v3, vcc_lo
	v_add_nc_u32_e32 v7, s33, v7
	s_delay_alu instid0(VALU_DEP_4)
	v_add_co_u32 v10, vcc_lo, s10, v4
	global_load_b64 v[8:9], v[8:9], off
	v_add_co_ci_u32_e32 v11, vcc_lo, s11, v5, vcc_lo
	v_cmp_le_i32_e64 s0, s5, v7
	s_add_u32 s10, s10, s13
	s_addc_u32 s11, s11, 0
	s_delay_alu instid0(VALU_DEP_1)
	s_or_b32 s17, s0, s17
	s_waitcnt vmcnt(0)
	global_store_b64 v[10:11], v[8:9], off
	s_and_not1_b32 exec_lo, exec_lo, s17
	s_cbranch_execnz .LBB26_50
	s_branch .LBB26_45
.LBB26_51:
	s_mov_b32 s2, 0
.LBB26_52:
	s_delay_alu instid0(SALU_CYCLE_1)
	s_and_b32 vcc_lo, exec_lo, s2
	s_cbranch_vccz .LBB26_56
; %bb.53:
	v_dual_mov_b32 v1, 0 :: v_dual_mov_b32 v2, s5
	s_mov_b32 s0, exec_lo
	global_store_b32 v1, v2, s[8:9]
	v_cmpx_gt_i32_e64 s5, v0
	s_cbranch_execz .LBB26_56
; %bb.54:
	v_lshlrev_b32_e32 v2, 3, v0
	s_mov_b32 s1, 0
	s_lshl_b32 s2, s33, 3
	.p2align	6
.LBB26_55:                              ; =>This Inner Loop Header: Depth=1
	s_delay_alu instid0(VALU_DEP_1)
	v_add_co_u32 v3, vcc_lo, s20, v2
	v_add_co_ci_u32_e32 v4, vcc_lo, s21, v1, vcc_lo
	v_add_nc_u32_e32 v0, s33, v0
	v_add_co_u32 v5, vcc_lo, s38, v2
	global_load_b64 v[3:4], v[3:4], off
	v_add_co_ci_u32_e32 v6, vcc_lo, s39, v1, vcc_lo
	v_cmp_le_i32_e32 vcc_lo, s5, v0
	v_add_co_u32 v2, s0, v2, s2
	s_delay_alu instid0(VALU_DEP_1)
	v_add_co_ci_u32_e64 v1, s0, 0, v1, s0
	s_or_b32 s1, vcc_lo, s1
	s_waitcnt vmcnt(0)
	global_store_b64 v[5:6], v[3:4], off
	s_and_not1_b32 exec_lo, exec_lo, s1
	s_cbranch_execnz .LBB26_55
.LBB26_56:
	s_nop 0
	s_sendmsg sendmsg(MSG_DEALLOC_VGPRS)
	s_endpgm
	.section	.rodata,"a",@progbits
	.p2align	6, 0x0
	.amdhsa_kernel _ZN9rocsolver6v33100L23stedcx_synthesis_kernelIdEEv15rocblas_erange_iiiPT_lPiS4_lS4_iliS5_S4_S3_
		.amdhsa_group_segment_fixed_size 0
		.amdhsa_private_segment_fixed_size 0
		.amdhsa_kernarg_size 368
		.amdhsa_user_sgpr_count 14
		.amdhsa_user_sgpr_dispatch_ptr 0
		.amdhsa_user_sgpr_queue_ptr 0
		.amdhsa_user_sgpr_kernarg_segment_ptr 1
		.amdhsa_user_sgpr_dispatch_id 0
		.amdhsa_user_sgpr_private_segment_size 0
		.amdhsa_wavefront_size32 1
		.amdhsa_uses_dynamic_stack 0
		.amdhsa_enable_private_segment 0
		.amdhsa_system_sgpr_workgroup_id_x 1
		.amdhsa_system_sgpr_workgroup_id_y 1
		.amdhsa_system_sgpr_workgroup_id_z 0
		.amdhsa_system_sgpr_workgroup_info 0
		.amdhsa_system_vgpr_workitem_id 0
		.amdhsa_next_free_vgpr 23
		.amdhsa_next_free_sgpr 56
		.amdhsa_reserve_vcc 1
		.amdhsa_float_round_mode_32 0
		.amdhsa_float_round_mode_16_64 0
		.amdhsa_float_denorm_mode_32 3
		.amdhsa_float_denorm_mode_16_64 3
		.amdhsa_dx10_clamp 1
		.amdhsa_ieee_mode 1
		.amdhsa_fp16_overflow 0
		.amdhsa_workgroup_processor_mode 1
		.amdhsa_memory_ordered 1
		.amdhsa_forward_progress 0
		.amdhsa_shared_vgpr_count 0
		.amdhsa_exception_fp_ieee_invalid_op 0
		.amdhsa_exception_fp_denorm_src 0
		.amdhsa_exception_fp_ieee_div_zero 0
		.amdhsa_exception_fp_ieee_overflow 0
		.amdhsa_exception_fp_ieee_underflow 0
		.amdhsa_exception_fp_ieee_inexact 0
		.amdhsa_exception_int_div_zero 0
	.end_amdhsa_kernel
	.section	.text._ZN9rocsolver6v33100L23stedcx_synthesis_kernelIdEEv15rocblas_erange_iiiPT_lPiS4_lS4_iliS5_S4_S3_,"axG",@progbits,_ZN9rocsolver6v33100L23stedcx_synthesis_kernelIdEEv15rocblas_erange_iiiPT_lPiS4_lS4_iliS5_S4_S3_,comdat
.Lfunc_end26:
	.size	_ZN9rocsolver6v33100L23stedcx_synthesis_kernelIdEEv15rocblas_erange_iiiPT_lPiS4_lS4_iliS5_S4_S3_, .Lfunc_end26-_ZN9rocsolver6v33100L23stedcx_synthesis_kernelIdEEv15rocblas_erange_iiiPT_lPiS4_lS4_iliS5_S4_S3_
                                        ; -- End function
	.section	.AMDGPU.csdata,"",@progbits
; Kernel info:
; codeLenInByte = 2464
; NumSgprs: 58
; NumVgprs: 23
; ScratchSize: 0
; MemoryBound: 0
; FloatMode: 240
; IeeeMode: 1
; LDSByteSize: 0 bytes/workgroup (compile time only)
; SGPRBlocks: 7
; VGPRBlocks: 2
; NumSGPRsForWavesPerEU: 58
; NumVGPRsForWavesPerEU: 23
; Occupancy: 16
; WaveLimiterHint : 1
; COMPUTE_PGM_RSRC2:SCRATCH_EN: 0
; COMPUTE_PGM_RSRC2:USER_SGPR: 14
; COMPUTE_PGM_RSRC2:TRAP_HANDLER: 0
; COMPUTE_PGM_RSRC2:TGID_X_EN: 1
; COMPUTE_PGM_RSRC2:TGID_Y_EN: 1
; COMPUTE_PGM_RSRC2:TGID_Z_EN: 0
; COMPUTE_PGM_RSRC2:TIDIG_COMP_CNT: 0
	.section	.text._ZN9rocsolver6v33100L8copy_matIdPdNS0_7no_maskEEEvNS0_17copymat_directionEiiT0_iilPT_T1_13rocblas_fill_17rocblas_diagonal_,"axG",@progbits,_ZN9rocsolver6v33100L8copy_matIdPdNS0_7no_maskEEEvNS0_17copymat_directionEiiT0_iilPT_T1_13rocblas_fill_17rocblas_diagonal_,comdat
	.globl	_ZN9rocsolver6v33100L8copy_matIdPdNS0_7no_maskEEEvNS0_17copymat_directionEiiT0_iilPT_T1_13rocblas_fill_17rocblas_diagonal_ ; -- Begin function _ZN9rocsolver6v33100L8copy_matIdPdNS0_7no_maskEEEvNS0_17copymat_directionEiiT0_iilPT_T1_13rocblas_fill_17rocblas_diagonal_
	.p2align	8
	.type	_ZN9rocsolver6v33100L8copy_matIdPdNS0_7no_maskEEEvNS0_17copymat_directionEiiT0_iilPT_T1_13rocblas_fill_17rocblas_diagonal_,@function
_ZN9rocsolver6v33100L8copy_matIdPdNS0_7no_maskEEEvNS0_17copymat_directionEiiT0_iilPT_T1_13rocblas_fill_17rocblas_diagonal_: ; @_ZN9rocsolver6v33100L8copy_matIdPdNS0_7no_maskEEEvNS0_17copymat_directionEiiT0_iilPT_T1_13rocblas_fill_17rocblas_diagonal_
; %bb.0:
	s_clause 0x1
	s_load_b32 s2, s[0:1], 0x4c
	s_load_b128 s[8:11], s[0:1], 0x0
	v_and_b32_e32 v2, 0x3ff, v0
	v_bfe_u32 v3, v0, 10, 10
	s_waitcnt lgkmcnt(0)
	s_lshr_b32 s3, s2, 16
	s_and_b32 s2, s2, 0xffff
	s_delay_alu instid0(VALU_DEP_1) | instid1(SALU_CYCLE_1)
	v_mad_u64_u32 v[0:1], null, s13, s2, v[2:3]
	v_mad_u64_u32 v[1:2], null, s14, s3, v[3:4]
	s_delay_alu instid0(VALU_DEP_2) | instskip(NEXT) | instid1(VALU_DEP_2)
	v_cmp_gt_u32_e32 vcc_lo, s9, v0
	v_cmp_gt_u32_e64 s2, s10, v1
	s_delay_alu instid0(VALU_DEP_1) | instskip(NEXT) | instid1(SALU_CYCLE_1)
	s_and_b32 s2, s2, vcc_lo
	s_and_saveexec_b32 s3, s2
	s_cbranch_execz .LBB27_14
; %bb.1:
	s_load_b64 s[4:5], s[0:1], 0x34
	s_waitcnt lgkmcnt(0)
	s_cmpk_lt_i32 s4, 0x7a
	s_cbranch_scc1 .LBB27_4
; %bb.2:
	s_cmpk_gt_i32 s4, 0x7a
	s_cbranch_scc0 .LBB27_5
; %bb.3:
	s_cmpk_lg_i32 s4, 0x7b
	s_mov_b32 s3, -1
	s_cselect_b32 s6, -1, 0
	s_cbranch_execz .LBB27_6
	s_branch .LBB27_7
.LBB27_4:
	s_mov_b32 s6, 0
	s_mov_b32 s3, 0
	s_cbranch_execnz .LBB27_8
	s_branch .LBB27_10
.LBB27_5:
	s_mov_b32 s3, 0
	s_mov_b32 s6, 0
.LBB27_6:
	v_cmp_gt_u32_e32 vcc_lo, v0, v1
	v_cmp_le_u32_e64 s2, v0, v1
	s_and_not1_b32 s3, s3, exec_lo
	s_and_not1_b32 s6, s6, exec_lo
	s_and_b32 s7, vcc_lo, exec_lo
	s_delay_alu instid0(VALU_DEP_1)
	s_and_b32 s2, s2, exec_lo
	s_or_b32 s3, s3, s7
	s_or_b32 s6, s6, s2
.LBB27_7:
	s_branch .LBB27_10
.LBB27_8:
	s_cmpk_eq_i32 s4, 0x79
	s_mov_b32 s6, -1
	s_cbranch_scc0 .LBB27_10
; %bb.9:
	v_cmp_gt_u32_e32 vcc_lo, v1, v0
	v_cmp_le_u32_e64 s2, v1, v0
	s_and_not1_b32 s3, s3, exec_lo
	s_and_b32 s4, vcc_lo, exec_lo
	s_delay_alu instid0(VALU_DEP_1)
	s_or_not1_b32 s6, s2, exec_lo
	s_or_b32 s3, s3, s4
.LBB27_10:
	s_and_saveexec_b32 s2, s6
; %bb.11:
	v_cmp_eq_u32_e32 vcc_lo, v0, v1
	s_cmpk_eq_i32 s5, 0x83
	s_cselect_b32 s4, -1, 0
	s_and_not1_b32 s3, s3, exec_lo
	s_and_b32 s4, s4, vcc_lo
	s_delay_alu instid0(SALU_CYCLE_1) | instskip(NEXT) | instid1(SALU_CYCLE_1)
	s_and_b32 s4, s4, exec_lo
	s_or_b32 s3, s3, s4
; %bb.12:
	s_or_b32 exec_lo, exec_lo, s2
	s_delay_alu instid0(SALU_CYCLE_1)
	s_and_b32 exec_lo, exec_lo, s3
	s_cbranch_execz .LBB27_14
; %bb.13:
	s_load_b256 s[0:7], s[0:1], 0x10
	s_ashr_i32 s12, s10, 31
	s_mul_i32 s16, s9, s15
	s_ashr_i32 s11, s9, 31
	s_mul_i32 s17, s16, s12
	s_mul_hi_u32 s14, s9, s15
	s_mul_i32 s11, s11, s15
	s_waitcnt lgkmcnt(0)
	s_mul_i32 s5, s15, s5
	s_mul_hi_u32 s12, s15, s4
	s_mul_i32 s4, s15, s4
	s_add_i32 s5, s12, s5
	s_ashr_i32 s13, s2, 31
	s_lshl_b64 s[4:5], s[4:5], 3
	s_mov_b32 s12, s2
	s_add_u32 s2, s0, s4
	s_addc_u32 s4, s1, s5
	s_lshl_b64 s[0:1], s[12:13], 3
	s_mul_hi_u32 s5, s16, s10
	s_add_u32 s2, s2, s0
	s_addc_u32 s4, s4, s1
	s_add_i32 s0, s14, s11
	s_add_i32 s1, s5, s17
	s_mul_i32 s5, s0, s10
	s_mul_i32 s0, s16, s10
	s_add_i32 s1, s1, s5
	s_delay_alu instid0(SALU_CYCLE_1) | instskip(NEXT) | instid1(SALU_CYCLE_1)
	s_lshl_b64 s[0:1], s[0:1], 3
	s_add_u32 s0, s6, s0
	s_addc_u32 s1, s7, s1
	s_cmp_eq_u32 s8, 0
	s_cselect_b32 s5, s3, s9
	s_cselect_b32 s6, s2, s0
	v_mad_u64_u32 v[2:3], null, v1, s5, v[0:1]
	v_mov_b32_e32 v3, 0
	s_cselect_b32 s5, s4, s1
	s_cselect_b32 s3, s9, s3
	;; [unrolled: 1-line block ×3, first 2 shown]
	v_mad_u64_u32 v[6:7], null, v1, s3, v[0:1]
	s_delay_alu instid0(VALU_DEP_3) | instskip(SKIP_2) | instid1(VALU_DEP_2)
	v_lshlrev_b64 v[4:5], 3, v[2:3]
	v_mov_b32_e32 v7, v3
	s_cselect_b32 s1, s1, s4
	v_add_co_u32 v4, vcc_lo, s6, v4
	s_delay_alu instid0(VALU_DEP_3) | instskip(NEXT) | instid1(VALU_DEP_3)
	v_add_co_ci_u32_e32 v5, vcc_lo, s5, v5, vcc_lo
	v_lshlrev_b64 v[0:1], 3, v[6:7]
	global_load_b64 v[4:5], v[4:5], off
	v_add_co_u32 v0, vcc_lo, s0, v0
	v_add_co_ci_u32_e32 v1, vcc_lo, s1, v1, vcc_lo
	s_waitcnt vmcnt(0)
	global_store_b64 v[0:1], v[4:5], off
.LBB27_14:
	s_nop 0
	s_sendmsg sendmsg(MSG_DEALLOC_VGPRS)
	s_endpgm
	.section	.rodata,"a",@progbits
	.p2align	6, 0x0
	.amdhsa_kernel _ZN9rocsolver6v33100L8copy_matIdPdNS0_7no_maskEEEvNS0_17copymat_directionEiiT0_iilPT_T1_13rocblas_fill_17rocblas_diagonal_
		.amdhsa_group_segment_fixed_size 0
		.amdhsa_private_segment_fixed_size 0
		.amdhsa_kernarg_size 320
		.amdhsa_user_sgpr_count 13
		.amdhsa_user_sgpr_dispatch_ptr 0
		.amdhsa_user_sgpr_queue_ptr 0
		.amdhsa_user_sgpr_kernarg_segment_ptr 1
		.amdhsa_user_sgpr_dispatch_id 0
		.amdhsa_user_sgpr_private_segment_size 0
		.amdhsa_wavefront_size32 1
		.amdhsa_uses_dynamic_stack 0
		.amdhsa_enable_private_segment 0
		.amdhsa_system_sgpr_workgroup_id_x 1
		.amdhsa_system_sgpr_workgroup_id_y 1
		.amdhsa_system_sgpr_workgroup_id_z 1
		.amdhsa_system_sgpr_workgroup_info 0
		.amdhsa_system_vgpr_workitem_id 1
		.amdhsa_next_free_vgpr 8
		.amdhsa_next_free_sgpr 18
		.amdhsa_reserve_vcc 1
		.amdhsa_float_round_mode_32 0
		.amdhsa_float_round_mode_16_64 0
		.amdhsa_float_denorm_mode_32 3
		.amdhsa_float_denorm_mode_16_64 3
		.amdhsa_dx10_clamp 1
		.amdhsa_ieee_mode 1
		.amdhsa_fp16_overflow 0
		.amdhsa_workgroup_processor_mode 1
		.amdhsa_memory_ordered 1
		.amdhsa_forward_progress 0
		.amdhsa_shared_vgpr_count 0
		.amdhsa_exception_fp_ieee_invalid_op 0
		.amdhsa_exception_fp_denorm_src 0
		.amdhsa_exception_fp_ieee_div_zero 0
		.amdhsa_exception_fp_ieee_overflow 0
		.amdhsa_exception_fp_ieee_underflow 0
		.amdhsa_exception_fp_ieee_inexact 0
		.amdhsa_exception_int_div_zero 0
	.end_amdhsa_kernel
	.section	.text._ZN9rocsolver6v33100L8copy_matIdPdNS0_7no_maskEEEvNS0_17copymat_directionEiiT0_iilPT_T1_13rocblas_fill_17rocblas_diagonal_,"axG",@progbits,_ZN9rocsolver6v33100L8copy_matIdPdNS0_7no_maskEEEvNS0_17copymat_directionEiiT0_iilPT_T1_13rocblas_fill_17rocblas_diagonal_,comdat
.Lfunc_end27:
	.size	_ZN9rocsolver6v33100L8copy_matIdPdNS0_7no_maskEEEvNS0_17copymat_directionEiiT0_iilPT_T1_13rocblas_fill_17rocblas_diagonal_, .Lfunc_end27-_ZN9rocsolver6v33100L8copy_matIdPdNS0_7no_maskEEEvNS0_17copymat_directionEiiT0_iilPT_T1_13rocblas_fill_17rocblas_diagonal_
                                        ; -- End function
	.section	.AMDGPU.csdata,"",@progbits
; Kernel info:
; codeLenInByte = 572
; NumSgprs: 20
; NumVgprs: 8
; ScratchSize: 0
; MemoryBound: 0
; FloatMode: 240
; IeeeMode: 1
; LDSByteSize: 0 bytes/workgroup (compile time only)
; SGPRBlocks: 2
; VGPRBlocks: 0
; NumSGPRsForWavesPerEU: 20
; NumVGPRsForWavesPerEU: 8
; Occupancy: 16
; WaveLimiterHint : 0
; COMPUTE_PGM_RSRC2:SCRATCH_EN: 0
; COMPUTE_PGM_RSRC2:USER_SGPR: 13
; COMPUTE_PGM_RSRC2:TRAP_HANDLER: 0
; COMPUTE_PGM_RSRC2:TGID_X_EN: 1
; COMPUTE_PGM_RSRC2:TGID_Y_EN: 1
; COMPUTE_PGM_RSRC2:TGID_Z_EN: 1
; COMPUTE_PGM_RSRC2:TIDIG_COMP_CNT: 1
	.section	.text._ZN9rocsolver6v33100L11stedcx_sortIddPdEEviPT0_lT1_iiliPiS6_,"axG",@progbits,_ZN9rocsolver6v33100L11stedcx_sortIddPdEEviPT0_lT1_iiliPiS6_,comdat
	.globl	_ZN9rocsolver6v33100L11stedcx_sortIddPdEEviPT0_lT1_iiliPiS6_ ; -- Begin function _ZN9rocsolver6v33100L11stedcx_sortIddPdEEviPT0_lT1_iiliPiS6_
	.p2align	8
	.type	_ZN9rocsolver6v33100L11stedcx_sortIddPdEEviPT0_lT1_iiliPiS6_,@function
_ZN9rocsolver6v33100L11stedcx_sortIddPdEEviPT0_lT1_iiliPiS6_: ; @_ZN9rocsolver6v33100L11stedcx_sortIddPdEEviPT0_lT1_iiliPiS6_
; %bb.0:
	s_load_b32 s30, s[0:1], 0x30
	s_mov_b32 s32, 0
	s_waitcnt lgkmcnt(0)
	s_cmp_ge_i32 s15, s30
	s_cbranch_scc1 .LBB28_69
; %bb.1:
	s_mov_b32 s16, s15
	s_clause 0x4
	s_load_b32 s18, s[0:1], 0x0
	s_load_b128 s[4:7], s[0:1], 0x38
	s_load_b256 s[8:15], s[0:1], 0x8
	s_load_b64 s[20:21], s[0:1], 0x28
	s_load_b32 s31, s[0:1], 0x50
	v_dual_mov_b32 v1, 0 :: v_dual_and_b32 v6, 0x3ff, v0
	v_bfe_u32 v7, v0, 10, 10
	v_bfe_u32 v8, v0, 20, 10
	s_mov_b32 s23, 0
	s_mov_b32 s44, 0
                                        ; implicit-def: $sgpr45
                                        ; implicit-def: $sgpr41
                                        ; implicit-def: $sgpr46
                                        ; implicit-def: $sgpr47
	s_delay_alu instid0(VALU_DEP_1)
	v_or3_b32 v0, v7, v8, v6
	s_waitcnt lgkmcnt(0)
	s_ashr_i32 s19, s18, 31
	s_mul_hi_i32 s3, s18, s16
	s_mul_i32 s2, s18, s16
	s_add_u32 s24, s0, 0x48
	s_addc_u32 s25, s1, 0
	s_lshl_b64 s[2:3], s[2:3], 2
	v_cmp_gt_i64_e64 s19, s[18:19], 0
	s_add_u32 s33, s4, s2
	s_addc_u32 s34, s5, s3
	s_cmp_lg_u64 s[12:13], 0
	s_mov_b32 s2, s14
	s_cselect_b32 s35, -1, 0
	s_ashr_i32 s3, s14, 31
	s_mov_b32 s43, s15
	s_lshl_b64 s[26:27], s[2:3], 3
	v_cmp_eq_u32_e64 s2, 0, v0
	s_add_u32 s36, s12, s26
	s_addc_u32 s37, s13, s27
	s_cmp_lg_u64 s[6:7], 0
	s_cselect_b32 s38, -1, 0
	s_cmp_eq_u64 s[8:9], 0
	s_cselect_b32 s39, -1, 0
	s_cmp_lg_u64 s[4:5], 0
	s_cselect_b32 s40, -1, 0
	s_cmp_gt_i32 s15, 0
	s_cselect_b32 s42, -1, 0
	s_branch .LBB28_4
.LBB28_2:                               ;   in Loop: Header=BB28_4 Depth=1
	s_or_b32 exec_lo, exec_lo, s12
	s_delay_alu instid0(SALU_CYCLE_1)
	s_and_not1_b32 s4, s47, exec_lo
	s_and_b32 s12, s14, exec_lo
	s_and_not1_b32 s13, s46, exec_lo
	s_and_b32 s3, s3, exec_lo
	s_or_b32 s47, s4, s12
	s_or_b32 s46, s13, s3
	s_or_not1_b32 s29, s17, exec_lo
.LBB28_3:                               ;   in Loop: Header=BB28_4 Depth=1
	s_or_b32 exec_lo, exec_lo, s5
	s_delay_alu instid0(SALU_CYCLE_1) | instskip(NEXT) | instid1(SALU_CYCLE_1)
	s_and_b32 s3, exec_lo, s29
	s_or_b32 s44, s3, s44
	s_and_not1_b32 s3, s41, exec_lo
	s_and_b32 s4, s47, exec_lo
	s_and_not1_b32 s5, s45, exec_lo
	s_and_b32 s12, s46, exec_lo
	s_or_b32 s41, s3, s4
	s_or_b32 s45, s5, s12
	s_and_not1_b32 exec_lo, exec_lo, s44
	s_cbranch_execz .LBB28_65
.LBB28_4:                               ; =>This Loop Header: Depth=1
                                        ;     Child Loop BB28_11 Depth 2
                                        ;     Child Loop BB28_15 Depth 2
                                        ;       Child Loop BB28_18 Depth 3
                                        ;         Child Loop BB28_22 Depth 4
                                        ;     Child Loop BB28_32 Depth 2
                                        ;     Child Loop BB28_46 Depth 2
                                        ;       Child Loop BB28_48 Depth 3
                                        ;         Child Loop BB28_53 Depth 4
                                        ;     Child Loop BB28_57 Depth 2
	s_ashr_i32 s17, s16, 31
	s_and_not1_b32 vcc_lo, exec_lo, s35
	s_mov_b64 s[12:13], 0
	s_cbranch_vccnz .LBB28_6
; %bb.5:                                ;   in Loop: Header=BB28_4 Depth=1
	s_mul_i32 s3, s16, s21
	s_mul_hi_u32 s4, s16, s20
	s_mul_i32 s5, s17, s20
	s_add_i32 s3, s4, s3
	s_mul_i32 s4, s16, s20
	s_add_i32 s5, s3, s5
	s_delay_alu instid0(SALU_CYCLE_1) | instskip(NEXT) | instid1(SALU_CYCLE_1)
	s_lshl_b64 s[4:5], s[4:5], 3
	s_add_u32 s12, s36, s4
	s_addc_u32 s13, s37, s5
.LBB28_6:                               ;   in Loop: Header=BB28_4 Depth=1
	s_and_not1_b32 vcc_lo, exec_lo, s38
	s_mov_b32 s28, s18
	s_cbranch_vccnz .LBB28_8
; %bb.7:                                ;   in Loop: Header=BB28_4 Depth=1
	s_lshl_b64 s[4:5], s[16:17], 2
	s_delay_alu instid0(SALU_CYCLE_1)
	s_add_u32 s4, s6, s4
	s_addc_u32 s5, s7, s5
	global_load_b32 v0, v1, s[4:5]
	s_waitcnt vmcnt(0)
	v_readfirstlane_b32 s28, v0
.LBB28_8:                               ;   in Loop: Header=BB28_4 Depth=1
	s_delay_alu instid0(VALU_DEP_1) | instskip(SKIP_4) | instid1(SALU_CYCLE_1)
	s_cmp_lt_i32 s28, 1
	s_mov_b32 s29, -1
	s_cselect_b32 s3, -1, 0
	s_mov_b32 s4, -1
	s_or_b32 s3, s39, s3
	s_and_b32 vcc_lo, exec_lo, s3
	s_barrier
	buffer_gl0_inv
                                        ; implicit-def: $sgpr3
                                        ; implicit-def: $sgpr14
	s_cbranch_vccnz .LBB28_41
; %bb.9:                                ;   in Loop: Header=BB28_4 Depth=1
	s_load_b64 s[4:5], s[24:25], 0xc
	s_waitcnt lgkmcnt(0)
	s_barrier
	buffer_gl0_inv
	s_lshr_b32 s3, s4, 16
	s_and_b32 s4, s4, 0xffff
	s_delay_alu instid0(SALU_CYCLE_1) | instskip(SKIP_3) | instid1(SALU_CYCLE_1)
	s_mul_i32 s48, s3, s4
	v_mul_u32_u24_e32 v2, s4, v7
	v_mul_lo_u32 v0, s48, v8
	s_and_b32 s3, s5, 0xffff
	s_mul_i32 s48, s48, s3
	s_delay_alu instid0(VALU_DEP_1) | instskip(NEXT) | instid1(VALU_DEP_1)
	v_add3_u32 v9, v2, v6, v0
	v_cmp_gt_u32_e32 vcc_lo, s28, v9
	s_and_b32 s4, s40, vcc_lo
	s_delay_alu instid0(SALU_CYCLE_1)
	s_and_saveexec_b32 s3, s4
	s_cbranch_execz .LBB28_12
; %bb.10:                               ;   in Loop: Header=BB28_4 Depth=1
	v_mov_b32_e32 v0, v9
	s_mov_b32 s4, 0
.LBB28_11:                              ;   Parent Loop BB28_4 Depth=1
                                        ; =>  This Inner Loop Header: Depth=2
	s_delay_alu instid0(VALU_DEP_1) | instskip(NEXT) | instid1(VALU_DEP_1)
	v_lshlrev_b64 v[2:3], 2, v[0:1]
	v_add_co_u32 v2, vcc_lo, s33, v2
	s_delay_alu instid0(VALU_DEP_2) | instskip(SKIP_2) | instid1(VALU_DEP_1)
	v_add_co_ci_u32_e32 v3, vcc_lo, s34, v3, vcc_lo
	global_store_b32 v[2:3], v0, off
	v_add_nc_u32_e32 v0, s48, v0
	v_cmp_le_u32_e32 vcc_lo, s28, v0
	s_or_b32 s4, vcc_lo, s4
	s_delay_alu instid0(SALU_CYCLE_1)
	s_and_not1_b32 exec_lo, exec_lo, s4
	s_cbranch_execnz .LBB28_11
.LBB28_12:                              ;   in Loop: Header=BB28_4 Depth=1
	s_or_b32 exec_lo, exec_lo, s3
	s_mul_i32 s3, s16, s11
	s_mul_hi_u32 s4, s16, s10
	s_mul_i32 s5, s17, s10
	s_add_i32 s3, s4, s3
	s_mul_i32 s4, s16, s10
	s_add_i32 s5, s3, s5
	s_waitcnt_vscnt null, 0x0
	s_lshl_b64 s[4:5], s[4:5], 3
	s_barrier
	s_add_u32 s17, s8, s4
	s_addc_u32 s49, s9, s5
	buffer_gl0_inv
	s_and_saveexec_b32 s3, s2
	s_cbranch_execz .LBB28_28
; %bb.13:                               ;   in Loop: Header=BB28_4 Depth=1
	s_mov_b32 s22, 0
	s_branch .LBB28_15
.LBB28_14:                              ;   in Loop: Header=BB28_15 Depth=2
	s_add_i32 s22, s22, 1
	s_delay_alu instid0(SALU_CYCLE_1)
	s_cmp_eq_u32 s22, 8
	s_cbranch_scc1 .LBB28_28
.LBB28_15:                              ;   Parent Loop BB28_4 Depth=1
                                        ; =>  This Loop Header: Depth=2
                                        ;       Child Loop BB28_18 Depth 3
                                        ;         Child Loop BB28_22 Depth 4
	s_getpc_b64 s[4:5]
	s_add_u32 s4, s4, __const._ZN9rocsolver6v33100L20shell_sort_ascendingIdiEEvT0_PT_PS2_.gaps@rel32@lo+4
	s_addc_u32 s5, s5, __const._ZN9rocsolver6v33100L20shell_sort_ascendingIdiEEvT0_PT_PS2_.gaps@rel32@hi+12
	s_lshl_b64 s[14:15], s[22:23], 2
	s_delay_alu instid0(SALU_CYCLE_1)
	s_add_u32 s4, s14, s4
	s_addc_u32 s5, s15, s5
	s_load_b32 s50, s[4:5], 0x0
	s_waitcnt lgkmcnt(0)
	s_cmp_ge_i32 s50, s28
	s_cbranch_scc1 .LBB28_14
; %bb.16:                               ;   in Loop: Header=BB28_15 Depth=2
	s_mov_b32 s51, 0
	s_mov_b32 s4, s50
	s_branch .LBB28_18
.LBB28_17:                              ;   in Loop: Header=BB28_18 Depth=3
	s_add_i32 s4, s4, 1
	s_add_i32 s51, s51, 1
	s_cmp_ge_i32 s4, s28
	s_cbranch_scc1 .LBB28_14
.LBB28_18:                              ;   Parent Loop BB28_4 Depth=1
                                        ;     Parent Loop BB28_15 Depth=2
                                        ; =>    This Loop Header: Depth=3
                                        ;         Child Loop BB28_22 Depth 4
	s_ashr_i32 s5, s4, 31
	s_delay_alu instid0(SALU_CYCLE_1) | instskip(NEXT) | instid1(SALU_CYCLE_1)
	s_lshl_b64 s[14:15], s[4:5], 3
	s_add_u32 s14, s17, s14
	s_addc_u32 s15, s49, s15
	s_and_not1_b32 vcc_lo, exec_lo, s40
	global_load_b64 v[2:3], v1, s[14:15]
	s_cbranch_vccnz .LBB28_20
; %bb.19:                               ;   in Loop: Header=BB28_18 Depth=3
	s_lshl_b64 s[14:15], s[4:5], 2
	s_delay_alu instid0(SALU_CYCLE_1)
	s_add_u32 s14, s33, s14
	s_addc_u32 s15, s34, s15
	global_load_b32 v0, v1, s[14:15]
	s_cmp_lt_i32 s4, s50
	s_mov_b64 s[14:15], s[4:5]
	s_mov_b32 s26, s51
	s_cbranch_scc0 .LBB28_22
	s_branch .LBB28_26
.LBB28_20:                              ;   in Loop: Header=BB28_18 Depth=3
	v_mov_b32_e32 v0, 0
	s_cmp_lt_i32 s4, s50
	s_mov_b64 s[14:15], s[4:5]
	s_mov_b32 s26, s51
	s_cbranch_scc0 .LBB28_22
	s_branch .LBB28_26
	.p2align	6
.LBB28_21:                              ;   in Loop: Header=BB28_22 Depth=4
                                        ; implicit-def: $sgpr26
	s_cbranch_execnz .LBB28_26
.LBB28_22:                              ;   Parent Loop BB28_4 Depth=1
                                        ;     Parent Loop BB28_15 Depth=2
                                        ;       Parent Loop BB28_18 Depth=3
                                        ; =>      This Inner Loop Header: Depth=4
	s_ashr_i32 s27, s26, 31
	s_add_i32 s14, s50, s26
	s_lshl_b64 s[52:53], s[26:27], 3
	s_delay_alu instid0(SALU_CYCLE_1)
	s_add_u32 s52, s17, s52
	s_addc_u32 s53, s49, s53
	s_ashr_i32 s15, s14, 31
	global_load_b64 v[4:5], v1, s[52:53]
	s_waitcnt vmcnt(0)
	v_cmp_ngt_f64_e32 vcc_lo, v[4:5], v[2:3]
	s_cbranch_vccnz .LBB28_21
; %bb.23:                               ;   in Loop: Header=BB28_22 Depth=4
	s_lshl_b64 s[52:53], s[14:15], 3
	s_delay_alu instid0(SALU_CYCLE_1)
	s_add_u32 s52, s17, s52
	s_addc_u32 s53, s49, s53
	s_and_not1_b32 vcc_lo, exec_lo, s40
	global_store_b64 v1, v[4:5], s[52:53]
	s_cbranch_vccnz .LBB28_25
; %bb.24:                               ;   in Loop: Header=BB28_22 Depth=4
	s_lshl_b64 s[14:15], s[14:15], 2
	s_delay_alu instid0(SALU_CYCLE_1) | instskip(SKIP_2) | instid1(SALU_CYCLE_1)
	s_add_u32 s14, s33, s14
	s_addc_u32 s15, s34, s15
	s_lshl_b64 s[52:53], s[26:27], 2
	s_add_u32 s52, s33, s52
	s_addc_u32 s53, s34, s53
	global_load_b32 v4, v1, s[52:53]
	s_waitcnt vmcnt(0)
	global_store_b32 v1, v4, s[14:15]
.LBB28_25:                              ;   in Loop: Header=BB28_22 Depth=4
	s_sub_i32 s52, s26, s50
	s_cmp_lt_i32 s26, s50
	s_mov_b64 s[14:15], s[26:27]
	s_cselect_b32 s5, -1, 0
	s_mov_b32 s26, s52
	s_and_b32 vcc_lo, exec_lo, s5
	s_cbranch_vccz .LBB28_22
.LBB28_26:                              ;   in Loop: Header=BB28_18 Depth=3
	s_lshl_b64 s[26:27], s[14:15], 3
	s_delay_alu instid0(SALU_CYCLE_1)
	s_add_u32 s26, s17, s26
	s_addc_u32 s27, s49, s27
	s_and_not1_b32 vcc_lo, exec_lo, s40
	s_waitcnt vmcnt(0)
	global_store_b64 v1, v[2:3], s[26:27]
	s_cbranch_vccnz .LBB28_17
; %bb.27:                               ;   in Loop: Header=BB28_18 Depth=3
	s_lshl_b64 s[14:15], s[14:15], 2
	s_delay_alu instid0(SALU_CYCLE_1)
	s_add_u32 s14, s33, s14
	s_addc_u32 s15, s34, s15
	global_store_b32 v1, v0, s[14:15]
	s_branch .LBB28_17
.LBB28_28:                              ;   in Loop: Header=BB28_4 Depth=1
	s_or_b32 exec_lo, exec_lo, s3
	s_cmp_lt_i32 s28, 2
	s_waitcnt_vscnt null, 0x0
	s_cselect_b32 s15, -1, 0
	s_barrier
	s_and_b32 vcc_lo, exec_lo, s15
	buffer_gl0_inv
	s_cbranch_vccnz .LBB28_36
; %bb.29:                               ;   in Loop: Header=BB28_4 Depth=1
	s_add_i32 s5, s28, -1
	s_mov_b32 s15, -1
	s_mov_b32 s4, exec_lo
                                        ; implicit-def: $sgpr3
                                        ; implicit-def: $sgpr14
	v_cmpx_gt_u32_e64 s5, v9
	s_cbranch_execz .LBB28_38
; %bb.30:                               ;   in Loop: Header=BB28_4 Depth=1
	v_mov_b32_e32 v0, v9
	s_add_u32 s14, s17, 8
	s_addc_u32 s22, s49, 0
	s_mov_b32 s15, 0
                                        ; implicit-def: $sgpr27
                                        ; implicit-def: $sgpr50
                                        ; implicit-def: $sgpr26
	s_branch .LBB28_32
.LBB28_31:                              ;   in Loop: Header=BB28_32 Depth=2
	s_or_b32 exec_lo, exec_lo, s55
	s_xor_b32 s52, s54, -1
	s_and_b32 s53, exec_lo, s53
	s_delay_alu instid0(SALU_CYCLE_1)
	s_or_b32 s15, s53, s15
	s_and_not1_b32 s26, s26, exec_lo
	s_and_b32 s52, s52, exec_lo
	s_and_not1_b32 s50, s50, exec_lo
	s_and_b32 s51, s51, exec_lo
	s_and_not1_b32 s27, s27, exec_lo
	s_and_b32 s3, s3, exec_lo
	s_or_b32 s26, s26, s52
	s_or_b32 s50, s50, s51
	;; [unrolled: 1-line block ×3, first 2 shown]
	s_and_not1_b32 exec_lo, exec_lo, s15
	s_cbranch_execz .LBB28_37
.LBB28_32:                              ;   Parent Loop BB28_4 Depth=1
                                        ; =>  This Inner Loop Header: Depth=2
	v_lshlrev_b64 v[2:3], 3, v[0:1]
	s_mov_b32 s53, exec_lo
                                        ; implicit-def: $sgpr51
                                        ; implicit-def: $sgpr3
	s_delay_alu instid0(VALU_DEP_1) | instskip(NEXT) | instid1(VALU_DEP_2)
	v_add_co_u32 v2, vcc_lo, s17, v2
	v_add_co_ci_u32_e32 v3, vcc_lo, s49, v3, vcc_lo
	global_load_b64 v[2:3], v[2:3], off
	s_waitcnt vmcnt(0)
	v_cmp_u_f64_e64 s52, v[2:3], v[2:3]
	v_cmpx_o_f64_e32 v[2:3], v[2:3]
	s_cbranch_execz .LBB28_34
; %bb.33:                               ;   in Loop: Header=BB28_32 Depth=2
	v_ashrrev_i32_e32 v5, 31, v0
	v_mov_b32_e32 v4, v0
	s_delay_alu instid0(VALU_DEP_4) | instskip(NEXT) | instid1(VALU_DEP_1)
	s_and_not1_b32 s52, s52, exec_lo
	v_lshlrev_b64 v[4:5], 3, v[4:5]
	s_delay_alu instid0(VALU_DEP_1) | instskip(NEXT) | instid1(VALU_DEP_2)
	v_add_co_u32 v4, vcc_lo, s14, v4
	v_add_co_ci_u32_e32 v5, vcc_lo, s22, v5, vcc_lo
	global_load_b64 v[4:5], v[4:5], off
	s_waitcnt vmcnt(0)
	v_cmp_u_f64_e32 vcc_lo, v[4:5], v[4:5]
	v_cmp_le_f64_e64 s3, v[2:3], v[4:5]
	s_delay_alu instid0(VALU_DEP_1)
	s_or_b32 s51, vcc_lo, s3
	s_mov_b32 s3, 0
	s_and_b32 s54, s51, exec_lo
	s_mov_b32 s51, -1
	s_or_b32 s52, s52, s54
.LBB28_34:                              ;   in Loop: Header=BB28_32 Depth=2
	s_or_b32 exec_lo, exec_lo, s53
	s_mov_b32 s53, -1
	s_mov_b32 s54, s51
	s_delay_alu instid0(VALU_DEP_2)
	s_and_saveexec_b32 s55, s52
	s_cbranch_execz .LBB28_31
; %bb.35:                               ;   in Loop: Header=BB28_32 Depth=2
	v_add_nc_u32_e32 v0, s48, v0
	s_and_not1_b32 s54, s51, exec_lo
	s_delay_alu instid0(VALU_DEP_1)
	v_cmp_le_u32_e32 vcc_lo, s5, v0
	s_or_not1_b32 s53, vcc_lo, exec_lo
	s_branch .LBB28_31
.LBB28_36:                              ;   in Loop: Header=BB28_4 Depth=1
                                        ; implicit-def: $sgpr3
                                        ; implicit-def: $sgpr14
	s_mov_b32 s4, 0
	s_and_saveexec_b32 s5, s15
	s_cbranch_execnz .LBB28_39
	s_branch .LBB28_40
.LBB28_37:                              ;   in Loop: Header=BB28_4 Depth=1
	s_or_b32 exec_lo, exec_lo, s15
	s_delay_alu instid0(SALU_CYCLE_1)
	s_and_b32 s14, s27, exec_lo
	s_and_b32 s3, s50, exec_lo
	s_or_not1_b32 s15, s26, exec_lo
.LBB28_38:                              ;   in Loop: Header=BB28_4 Depth=1
	s_or_b32 exec_lo, exec_lo, s4
	s_mov_b32 s4, 0
	s_and_saveexec_b32 s5, s15
	s_cbranch_execz .LBB28_40
.LBB28_39:                              ;   in Loop: Header=BB28_4 Depth=1
	s_mov_b32 s4, exec_lo
	s_and_not1_b32 s14, s14, exec_lo
	s_and_not1_b32 s3, s3, exec_lo
	s_barrier
	buffer_gl0_inv
.LBB28_40:                              ;   in Loop: Header=BB28_4 Depth=1
	s_or_b32 exec_lo, exec_lo, s5
.LBB28_41:                              ;   in Loop: Header=BB28_4 Depth=1
	s_delay_alu instid0(SALU_CYCLE_1)
	s_and_not1_b32 s5, s47, exec_lo
	s_and_b32 s14, s14, exec_lo
	s_and_not1_b32 s15, s46, exec_lo
	s_and_b32 s3, s3, exec_lo
	s_or_b32 s47, s5, s14
	s_or_b32 s46, s15, s3
	s_and_saveexec_b32 s5, s4
	s_cbranch_execz .LBB28_3
; %bb.42:                               ;   in Loop: Header=BB28_4 Depth=1
	s_cmp_lg_u64 s[12:13], 0
	s_mov_b32 s17, -1
	s_cselect_b32 s3, -1, 0
	s_mov_b32 s4, -1
	s_and_b32 s3, s19, s3
	s_delay_alu instid0(SALU_CYCLE_1)
	s_and_b32 s3, s42, s3
	s_barrier
	s_and_b32 s3, s40, s3
	buffer_gl0_inv
	s_and_b32 vcc_lo, exec_lo, s3
                                        ; implicit-def: $sgpr14
                                        ; implicit-def: $sgpr3
	s_cbranch_vccz .LBB28_63
; %bb.43:                               ;   in Loop: Header=BB28_4 Depth=1
	s_load_b64 s[14:15], s[24:25], 0xc
	s_waitcnt lgkmcnt(0)
	s_lshr_b32 s3, s14, 16
	s_and_b32 s4, s14, 0xffff
	s_delay_alu instid0(SALU_CYCLE_1)
	s_mul_i32 s49, s3, s4
	v_mul_u32_u24_e32 v2, s4, v7
	v_mul_lo_u32 v0, s49, v8
	s_and_b32 s3, s15, 0xffff
	s_cmp_lt_i32 s28, 0
	s_mul_i32 s49, s49, s3
	s_cselect_b32 s48, s18, s28
	s_delay_alu instid0(SALU_CYCLE_1) | instskip(NEXT) | instid1(VALU_DEP_1)
	s_cmp_eq_u32 s48, 0
	v_add3_u32 v2, v2, v6, v0
	s_cbranch_scc1 .LBB28_54
; %bb.44:                               ;   in Loop: Header=BB28_4 Depth=1
	s_delay_alu instid0(VALU_DEP_1)
	v_cmp_eq_u32_e64 s3, 0, v2
	v_cmp_gt_u32_e64 s4, s18, v2
	s_mov_b32 s22, 0
	s_branch .LBB28_46
.LBB28_45:                              ;   in Loop: Header=BB28_46 Depth=2
	s_add_i32 s22, s22, 1
	s_delay_alu instid0(SALU_CYCLE_1)
	s_cmp_eq_u32 s22, s48
	s_cbranch_scc1 .LBB28_54
.LBB28_46:                              ;   Parent Loop BB28_4 Depth=1
                                        ; =>  This Loop Header: Depth=2
                                        ;       Child Loop BB28_48 Depth 3
                                        ;         Child Loop BB28_53 Depth 4
	s_lshl_b64 s[14:15], s[22:23], 2
	s_delay_alu instid0(SALU_CYCLE_1)
	s_add_u32 s14, s33, s14
	s_addc_u32 s15, s34, s15
	s_barrier
	s_branch .LBB28_48
.LBB28_47:                              ;   in Loop: Header=BB28_48 Depth=3
	s_or_b32 exec_lo, exec_lo, s28
	s_waitcnt lgkmcnt(0)
	s_waitcnt_vscnt null, 0x0
	s_barrier
.LBB28_48:                              ;   Parent Loop BB28_4 Depth=1
                                        ;     Parent Loop BB28_46 Depth=2
                                        ; =>    This Loop Header: Depth=3
                                        ;         Child Loop BB28_53 Depth 4
	buffer_gl0_inv
	global_load_b32 v0, v1, s[14:15]
	s_waitcnt vmcnt(0)
	v_cmp_eq_u32_e32 vcc_lo, s22, v0
	v_readfirstlane_b32 s26, v0
	s_cbranch_vccnz .LBB28_45
; %bb.49:                               ;   in Loop: Header=BB28_48 Depth=3
	s_delay_alu instid0(VALU_DEP_1) | instskip(NEXT) | instid1(SALU_CYCLE_1)
	s_ashr_i32 s27, s26, 31
	s_lshl_b64 s[28:29], s[26:27], 2
	s_delay_alu instid0(SALU_CYCLE_1)
	s_add_u32 s28, s33, s28
	s_addc_u32 s29, s34, s29
	global_load_b32 v0, v1, s[28:29]
	s_waitcnt vmcnt(0)
	s_barrier
	buffer_gl0_inv
	v_readfirstlane_b32 s50, v0
	s_and_saveexec_b32 s51, s3
; %bb.50:                               ;   in Loop: Header=BB28_48 Depth=3
	s_delay_alu instid0(VALU_DEP_1)
	v_dual_mov_b32 v0, s26 :: v_dual_mov_b32 v3, s50
	s_clause 0x1
	global_store_b32 v1, v0, s[28:29]
	global_store_b32 v1, v3, s[14:15]
; %bb.51:                               ;   in Loop: Header=BB28_48 Depth=3
	s_or_b32 exec_lo, exec_lo, s51
	s_waitcnt_vscnt null, 0x0
	s_barrier
	buffer_gl0_inv
	s_and_saveexec_b32 s28, s4
	s_cbranch_execz .LBB28_47
; %bb.52:                               ;   in Loop: Header=BB28_48 Depth=3
	s_mul_i32 s27, s27, s43
	s_mul_hi_u32 s29, s26, s43
	s_mul_i32 s26, s26, s43
	s_add_i32 s27, s29, s27
	s_ashr_i32 s29, s50, 31
	s_mul_hi_u32 s51, s50, s43
	s_mul_i32 s29, s29, s43
	s_lshl_b64 s[26:27], s[26:27], 3
	s_add_i32 s51, s51, s29
	s_mul_i32 s50, s50, s43
	s_add_u32 s26, s12, s26
	s_addc_u32 s27, s13, s27
	s_lshl_b64 s[50:51], s[50:51], 3
	v_mov_b32_e32 v0, v2
	s_add_u32 s29, s12, s50
	s_addc_u32 s50, s13, s51
	s_mov_b32 s51, 0
	.p2align	6
.LBB28_53:                              ;   Parent Loop BB28_4 Depth=1
                                        ;     Parent Loop BB28_46 Depth=2
                                        ;       Parent Loop BB28_48 Depth=3
                                        ; =>      This Inner Loop Header: Depth=4
	s_delay_alu instid0(VALU_DEP_1) | instskip(SKIP_1) | instid1(VALU_DEP_2)
	v_lshlrev_b64 v[3:4], 3, v[0:1]
	v_add_nc_u32_e32 v0, s49, v0
	v_add_co_u32 v9, vcc_lo, s29, v3
	s_delay_alu instid0(VALU_DEP_3)
	v_add_co_ci_u32_e32 v10, vcc_lo, s50, v4, vcc_lo
	v_add_co_u32 v3, vcc_lo, s26, v3
	v_add_co_ci_u32_e32 v4, vcc_lo, s27, v4, vcc_lo
	v_cmp_le_u32_e32 vcc_lo, s18, v0
	s_clause 0x1
	flat_load_b64 v[11:12], v[9:10]
	flat_load_b64 v[13:14], v[3:4]
	s_waitcnt vmcnt(1) lgkmcnt(1)
	flat_store_b64 v[3:4], v[11:12]
	s_waitcnt vmcnt(0) lgkmcnt(1)
	flat_store_b64 v[9:10], v[13:14]
	s_or_b32 s51, vcc_lo, s51
	s_delay_alu instid0(SALU_CYCLE_1)
	s_and_not1_b32 exec_lo, exec_lo, s51
	s_cbranch_execnz .LBB28_53
	s_branch .LBB28_47
.LBB28_54:                              ;   in Loop: Header=BB28_4 Depth=1
	s_mov_b32 s12, -1
	s_mov_b32 s4, exec_lo
	s_barrier
	buffer_gl0_inv
                                        ; implicit-def: $sgpr14
                                        ; implicit-def: $sgpr3
	v_cmpx_gt_u32_e64 s48, v2
	s_cbranch_execz .LBB28_60
; %bb.55:                               ;   in Loop: Header=BB28_4 Depth=1
	v_mov_b32_e32 v0, v2
	s_mov_b32 s3, 0
                                        ; implicit-def: $sgpr12
                                        ; implicit-def: $sgpr14
                                        ; implicit-def: $sgpr13
	s_set_inst_prefetch_distance 0x1
	s_branch .LBB28_57
	.p2align	6
.LBB28_56:                              ;   in Loop: Header=BB28_57 Depth=2
	s_or_b32 exec_lo, exec_lo, s15
	s_xor_b32 s15, s13, -1
	s_and_b32 s22, exec_lo, s14
	s_delay_alu instid0(SALU_CYCLE_1) | instskip(SKIP_2) | instid1(SALU_CYCLE_1)
	s_or_b32 s3, s22, s3
	s_and_not1_b32 s12, s12, exec_lo
	s_and_b32 s15, s15, exec_lo
	s_or_b32 s12, s12, s15
	s_and_not1_b32 exec_lo, exec_lo, s3
	s_cbranch_execz .LBB28_59
.LBB28_57:                              ;   Parent Loop BB28_4 Depth=1
                                        ; =>  This Inner Loop Header: Depth=2
	s_delay_alu instid0(VALU_DEP_1) | instskip(SKIP_3) | instid1(VALU_DEP_1)
	v_lshlrev_b64 v[2:3], 2, v[0:1]
	s_or_b32 s13, s13, exec_lo
	s_or_b32 s14, s14, exec_lo
	s_mov_b32 s15, exec_lo
	v_add_co_u32 v2, vcc_lo, s33, v2
	s_delay_alu instid0(VALU_DEP_2)
	v_add_co_ci_u32_e32 v3, vcc_lo, s34, v3, vcc_lo
	global_load_b32 v2, v[2:3], off
	s_waitcnt vmcnt(0)
	v_cmpx_eq_u32_e64 v0, v2
	s_cbranch_execz .LBB28_56
; %bb.58:                               ;   in Loop: Header=BB28_57 Depth=2
	v_add_nc_u32_e32 v0, s49, v0
	s_and_not1_b32 s14, s14, exec_lo
	s_and_not1_b32 s13, s13, exec_lo
	s_delay_alu instid0(VALU_DEP_1) | instskip(SKIP_1) | instid1(SALU_CYCLE_1)
	v_cmp_le_u32_e32 vcc_lo, s48, v0
	s_and_b32 s22, vcc_lo, exec_lo
	s_or_b32 s14, s14, s22
	s_branch .LBB28_56
.LBB28_59:                              ;   in Loop: Header=BB28_4 Depth=1
	s_set_inst_prefetch_distance 0x2
	s_or_b32 exec_lo, exec_lo, s3
	s_mov_b32 s3, 0
	s_mov_b32 s14, -1
	s_or_not1_b32 s12, s12, exec_lo
.LBB28_60:                              ;   in Loop: Header=BB28_4 Depth=1
	s_or_b32 exec_lo, exec_lo, s4
	s_mov_b32 s4, 0
	s_and_saveexec_b32 s13, s12
	s_cbranch_execz .LBB28_62
; %bb.61:                               ;   in Loop: Header=BB28_4 Depth=1
	s_mov_b32 s4, exec_lo
	s_barrier
	buffer_gl0_inv
                                        ; implicit-def: $sgpr14
                                        ; implicit-def: $sgpr3
.LBB28_62:                              ;   in Loop: Header=BB28_4 Depth=1
	s_or_b32 exec_lo, exec_lo, s13
.LBB28_63:                              ;   in Loop: Header=BB28_4 Depth=1
	s_and_saveexec_b32 s12, s4
	s_cbranch_execz .LBB28_2
; %bb.64:                               ;   in Loop: Header=BB28_4 Depth=1
	s_add_i32 s16, s16, s31
	s_delay_alu instid0(SALU_CYCLE_1)
	s_cmp_ge_i32 s16, s30
	s_barrier
	s_cselect_b32 s4, -1, 0
	s_and_not1_b32 s14, s14, exec_lo
	s_and_not1_b32 s3, s3, exec_lo
	s_or_not1_b32 s17, s4, exec_lo
	buffer_gl0_inv
	s_branch .LBB28_2
.LBB28_65:
	s_or_b32 exec_lo, exec_lo, s44
	s_xor_b32 s2, s45, -1
	s_mov_b32 s21, 0
	s_and_saveexec_b32 s3, s2
	s_delay_alu instid0(SALU_CYCLE_1)
	s_xor_b32 s24, exec_lo, s3
	s_cbranch_execnz .LBB28_70
; %bb.66:
	s_and_not1_saveexec_b32 s22, s24
	s_cbranch_execnz .LBB28_73
.LBB28_67:
	s_or_b32 exec_lo, exec_lo, s22
	s_and_saveexec_b32 s0, s21
.LBB28_68:
	; divergent unreachable
.LBB28_69:
	s_endpgm
.LBB28_70:
	s_mov_b32 s2, 0
	s_and_saveexec_b32 s3, s41
	s_delay_alu instid0(SALU_CYCLE_1)
	s_xor_b32 s21, exec_lo, s3
	s_cbranch_execz .LBB28_72
; %bb.71:
	s_add_u32 s8, s0, 0x48
	s_addc_u32 s9, s1, 0
	s_getpc_b64 s[2:3]
	s_add_u32 s2, s2, .str.6@rel32@lo+4
	s_addc_u32 s3, s3, .str.6@rel32@hi+12
	s_getpc_b64 s[4:5]
	s_add_u32 s4, s4, __PRETTY_FUNCTION__._ZN9rocsolver6v33100L12permute_swapIdiEEvT0_PT_S2_PS2_S2_@rel32@lo+4
	s_addc_u32 s5, s5, __PRETTY_FUNCTION__._ZN9rocsolver6v33100L12permute_swapIdiEEvT0_PT_S2_PS2_S2_@rel32@hi+12
	v_dual_mov_b32 v0, s2 :: v_dual_mov_b32 v1, s3
	v_dual_mov_b32 v2, 0x25b :: v_dual_mov_b32 v3, s4
	v_mov_b32_e32 v4, s5
	s_getpc_b64 s[6:7]
	s_add_u32 s6, s6, __assert_fail@rel32@lo+4
	s_addc_u32 s7, s7, __assert_fail@rel32@hi+12
	s_mov_b64 s[22:23], s[0:1]
	s_swappc_b64 s[30:31], s[6:7]
	s_mov_b64 s[0:1], s[22:23]
	s_mov_b32 s2, exec_lo
.LBB28_72:
	s_or_b32 exec_lo, exec_lo, s21
	s_delay_alu instid0(SALU_CYCLE_1)
	s_and_b32 s21, s2, exec_lo
	s_and_not1_saveexec_b32 s22, s24
	s_cbranch_execz .LBB28_67
.LBB28_73:
	s_add_u32 s8, s0, 0x48
	s_addc_u32 s9, s1, 0
	s_getpc_b64 s[0:1]
	s_add_u32 s0, s0, .str.3@rel32@lo+4
	s_addc_u32 s1, s1, .str.3@rel32@hi+12
	s_getpc_b64 s[2:3]
	s_add_u32 s2, s2, __PRETTY_FUNCTION__._ZN9rocsolver6v33100L20shell_sort_ascendingIdiEEvT0_PT_PS2_@rel32@lo+4
	s_addc_u32 s3, s3, __PRETTY_FUNCTION__._ZN9rocsolver6v33100L20shell_sort_ascendingIdiEEvT0_PT_PS2_@rel32@hi+12
	v_dual_mov_b32 v0, s0 :: v_dual_mov_b32 v1, s1
	v_dual_mov_b32 v2, 0xea :: v_dual_mov_b32 v3, s2
	v_mov_b32_e32 v4, s3
	s_getpc_b64 s[4:5]
	s_add_u32 s4, s4, __assert_fail@rel32@lo+4
	s_addc_u32 s5, s5, __assert_fail@rel32@hi+12
	s_delay_alu instid0(SALU_CYCLE_1)
	s_swappc_b64 s[30:31], s[4:5]
	s_or_b32 s21, s21, exec_lo
	s_or_b32 exec_lo, exec_lo, s22
	s_and_saveexec_b32 s0, s21
	s_cbranch_execnz .LBB28_68
	s_branch .LBB28_69
	.section	.rodata,"a",@progbits
	.p2align	6, 0x0
	.amdhsa_kernel _ZN9rocsolver6v33100L11stedcx_sortIddPdEEviPT0_lT1_iiliPiS6_
		.amdhsa_group_segment_fixed_size 0
		.amdhsa_private_segment_fixed_size 64
		.amdhsa_kernarg_size 328
		.amdhsa_user_sgpr_count 14
		.amdhsa_user_sgpr_dispatch_ptr 0
		.amdhsa_user_sgpr_queue_ptr 0
		.amdhsa_user_sgpr_kernarg_segment_ptr 1
		.amdhsa_user_sgpr_dispatch_id 0
		.amdhsa_user_sgpr_private_segment_size 0
		.amdhsa_wavefront_size32 1
		.amdhsa_uses_dynamic_stack 0
		.amdhsa_enable_private_segment 1
		.amdhsa_system_sgpr_workgroup_id_x 1
		.amdhsa_system_sgpr_workgroup_id_y 0
		.amdhsa_system_sgpr_workgroup_id_z 1
		.amdhsa_system_sgpr_workgroup_info 0
		.amdhsa_system_vgpr_workitem_id 2
		.amdhsa_next_free_vgpr 51
		.amdhsa_next_free_sgpr 56
		.amdhsa_reserve_vcc 1
		.amdhsa_float_round_mode_32 0
		.amdhsa_float_round_mode_16_64 0
		.amdhsa_float_denorm_mode_32 3
		.amdhsa_float_denorm_mode_16_64 3
		.amdhsa_dx10_clamp 1
		.amdhsa_ieee_mode 1
		.amdhsa_fp16_overflow 0
		.amdhsa_workgroup_processor_mode 1
		.amdhsa_memory_ordered 1
		.amdhsa_forward_progress 0
		.amdhsa_shared_vgpr_count 0
		.amdhsa_exception_fp_ieee_invalid_op 0
		.amdhsa_exception_fp_denorm_src 0
		.amdhsa_exception_fp_ieee_div_zero 0
		.amdhsa_exception_fp_ieee_overflow 0
		.amdhsa_exception_fp_ieee_underflow 0
		.amdhsa_exception_fp_ieee_inexact 0
		.amdhsa_exception_int_div_zero 0
	.end_amdhsa_kernel
	.section	.text._ZN9rocsolver6v33100L11stedcx_sortIddPdEEviPT0_lT1_iiliPiS6_,"axG",@progbits,_ZN9rocsolver6v33100L11stedcx_sortIddPdEEviPT0_lT1_iiliPiS6_,comdat
.Lfunc_end28:
	.size	_ZN9rocsolver6v33100L11stedcx_sortIddPdEEviPT0_lT1_iiliPiS6_, .Lfunc_end28-_ZN9rocsolver6v33100L11stedcx_sortIddPdEEviPT0_lT1_iiliPiS6_
                                        ; -- End function
	.section	.AMDGPU.csdata,"",@progbits
; Kernel info:
; codeLenInByte = 2756
; NumSgprs: 58
; NumVgprs: 51
; ScratchSize: 64
; MemoryBound: 0
; FloatMode: 240
; IeeeMode: 1
; LDSByteSize: 0 bytes/workgroup (compile time only)
; SGPRBlocks: 7
; VGPRBlocks: 6
; NumSGPRsForWavesPerEU: 58
; NumVGPRsForWavesPerEU: 51
; Occupancy: 16
; WaveLimiterHint : 1
; COMPUTE_PGM_RSRC2:SCRATCH_EN: 1
; COMPUTE_PGM_RSRC2:USER_SGPR: 14
; COMPUTE_PGM_RSRC2:TRAP_HANDLER: 0
; COMPUTE_PGM_RSRC2:TGID_X_EN: 1
; COMPUTE_PGM_RSRC2:TGID_Y_EN: 0
; COMPUTE_PGM_RSRC2:TGID_Z_EN: 1
; COMPUTE_PGM_RSRC2:TIDIG_COMP_CNT: 2
	.section	.text._ZN9rocsolver6v33100L16reset_batch_infoI19rocblas_complex_numIfEiiPS3_EEvT2_lT0_T1_,"axG",@progbits,_ZN9rocsolver6v33100L16reset_batch_infoI19rocblas_complex_numIfEiiPS3_EEvT2_lT0_T1_,comdat
	.globl	_ZN9rocsolver6v33100L16reset_batch_infoI19rocblas_complex_numIfEiiPS3_EEvT2_lT0_T1_ ; -- Begin function _ZN9rocsolver6v33100L16reset_batch_infoI19rocblas_complex_numIfEiiPS3_EEvT2_lT0_T1_
	.p2align	8
	.type	_ZN9rocsolver6v33100L16reset_batch_infoI19rocblas_complex_numIfEiiPS3_EEvT2_lT0_T1_,@function
_ZN9rocsolver6v33100L16reset_batch_infoI19rocblas_complex_numIfEiiPS3_EEvT2_lT0_T1_: ; @_ZN9rocsolver6v33100L16reset_batch_infoI19rocblas_complex_numIfEiiPS3_EEvT2_lT0_T1_
; %bb.0:
	s_clause 0x1
	s_load_b32 s4, s[0:1], 0x24
	s_load_b64 s[2:3], s[0:1], 0x10
	s_waitcnt lgkmcnt(0)
	s_and_b32 s4, s4, 0xffff
	s_delay_alu instid0(SALU_CYCLE_1) | instskip(NEXT) | instid1(VALU_DEP_1)
	v_mad_u64_u32 v[1:2], null, s14, s4, v[0:1]
	v_cmp_gt_i32_e32 vcc_lo, s2, v1
	s_and_saveexec_b32 s2, vcc_lo
	s_cbranch_execz .LBB29_2
; %bb.1:
	s_load_b128 s[4:7], s[0:1], 0x0
	v_ashrrev_i32_e32 v2, 31, v1
	s_ashr_i32 s0, s15, 31
	v_mov_b32_e32 v3, 0
	s_delay_alu instid0(VALU_DEP_2)
	v_lshlrev_b64 v[0:1], 3, v[1:2]
	v_cvt_f32_i32_e32 v2, s3
	s_waitcnt lgkmcnt(0)
	s_mul_i32 s1, s15, s7
	s_mul_hi_u32 s2, s15, s6
	s_mul_i32 s7, s0, s6
	s_add_i32 s1, s2, s1
	s_mul_i32 s0, s15, s6
	s_add_i32 s1, s1, s7
	s_delay_alu instid0(SALU_CYCLE_1) | instskip(NEXT) | instid1(SALU_CYCLE_1)
	s_lshl_b64 s[0:1], s[0:1], 3
	s_add_u32 s0, s4, s0
	s_addc_u32 s1, s5, s1
	v_add_co_u32 v0, vcc_lo, s0, v0
	v_add_co_ci_u32_e32 v1, vcc_lo, s1, v1, vcc_lo
	global_store_b64 v[0:1], v[2:3], off
.LBB29_2:
	s_nop 0
	s_sendmsg sendmsg(MSG_DEALLOC_VGPRS)
	s_endpgm
	.section	.rodata,"a",@progbits
	.p2align	6, 0x0
	.amdhsa_kernel _ZN9rocsolver6v33100L16reset_batch_infoI19rocblas_complex_numIfEiiPS3_EEvT2_lT0_T1_
		.amdhsa_group_segment_fixed_size 0
		.amdhsa_private_segment_fixed_size 0
		.amdhsa_kernarg_size 280
		.amdhsa_user_sgpr_count 14
		.amdhsa_user_sgpr_dispatch_ptr 0
		.amdhsa_user_sgpr_queue_ptr 0
		.amdhsa_user_sgpr_kernarg_segment_ptr 1
		.amdhsa_user_sgpr_dispatch_id 0
		.amdhsa_user_sgpr_private_segment_size 0
		.amdhsa_wavefront_size32 1
		.amdhsa_uses_dynamic_stack 0
		.amdhsa_enable_private_segment 0
		.amdhsa_system_sgpr_workgroup_id_x 1
		.amdhsa_system_sgpr_workgroup_id_y 1
		.amdhsa_system_sgpr_workgroup_id_z 0
		.amdhsa_system_sgpr_workgroup_info 0
		.amdhsa_system_vgpr_workitem_id 0
		.amdhsa_next_free_vgpr 4
		.amdhsa_next_free_sgpr 16
		.amdhsa_reserve_vcc 1
		.amdhsa_float_round_mode_32 0
		.amdhsa_float_round_mode_16_64 0
		.amdhsa_float_denorm_mode_32 3
		.amdhsa_float_denorm_mode_16_64 3
		.amdhsa_dx10_clamp 1
		.amdhsa_ieee_mode 1
		.amdhsa_fp16_overflow 0
		.amdhsa_workgroup_processor_mode 1
		.amdhsa_memory_ordered 1
		.amdhsa_forward_progress 0
		.amdhsa_shared_vgpr_count 0
		.amdhsa_exception_fp_ieee_invalid_op 0
		.amdhsa_exception_fp_denorm_src 0
		.amdhsa_exception_fp_ieee_div_zero 0
		.amdhsa_exception_fp_ieee_overflow 0
		.amdhsa_exception_fp_ieee_underflow 0
		.amdhsa_exception_fp_ieee_inexact 0
		.amdhsa_exception_int_div_zero 0
	.end_amdhsa_kernel
	.section	.text._ZN9rocsolver6v33100L16reset_batch_infoI19rocblas_complex_numIfEiiPS3_EEvT2_lT0_T1_,"axG",@progbits,_ZN9rocsolver6v33100L16reset_batch_infoI19rocblas_complex_numIfEiiPS3_EEvT2_lT0_T1_,comdat
.Lfunc_end29:
	.size	_ZN9rocsolver6v33100L16reset_batch_infoI19rocblas_complex_numIfEiiPS3_EEvT2_lT0_T1_, .Lfunc_end29-_ZN9rocsolver6v33100L16reset_batch_infoI19rocblas_complex_numIfEiiPS3_EEvT2_lT0_T1_
                                        ; -- End function
	.section	.AMDGPU.csdata,"",@progbits
; Kernel info:
; codeLenInByte = 168
; NumSgprs: 18
; NumVgprs: 4
; ScratchSize: 0
; MemoryBound: 0
; FloatMode: 240
; IeeeMode: 1
; LDSByteSize: 0 bytes/workgroup (compile time only)
; SGPRBlocks: 2
; VGPRBlocks: 0
; NumSGPRsForWavesPerEU: 18
; NumVGPRsForWavesPerEU: 4
; Occupancy: 16
; WaveLimiterHint : 0
; COMPUTE_PGM_RSRC2:SCRATCH_EN: 0
; COMPUTE_PGM_RSRC2:USER_SGPR: 14
; COMPUTE_PGM_RSRC2:TRAP_HANDLER: 0
; COMPUTE_PGM_RSRC2:TGID_X_EN: 1
; COMPUTE_PGM_RSRC2:TGID_Y_EN: 1
; COMPUTE_PGM_RSRC2:TGID_Z_EN: 0
; COMPUTE_PGM_RSRC2:TIDIG_COMP_CNT: 0
	.section	.text._ZN9rocsolver6v33100L10init_identI19rocblas_complex_numIfEPS3_EEviiT0_iil,"axG",@progbits,_ZN9rocsolver6v33100L10init_identI19rocblas_complex_numIfEPS3_EEviiT0_iil,comdat
	.globl	_ZN9rocsolver6v33100L10init_identI19rocblas_complex_numIfEPS3_EEviiT0_iil ; -- Begin function _ZN9rocsolver6v33100L10init_identI19rocblas_complex_numIfEPS3_EEviiT0_iil
	.p2align	8
	.type	_ZN9rocsolver6v33100L10init_identI19rocblas_complex_numIfEPS3_EEviiT0_iil,@function
_ZN9rocsolver6v33100L10init_identI19rocblas_complex_numIfEPS3_EEviiT0_iil: ; @_ZN9rocsolver6v33100L10init_identI19rocblas_complex_numIfEPS3_EEviiT0_iil
; %bb.0:
	s_clause 0x1
	s_load_b32 s4, s[0:1], 0x2c
	s_load_b64 s[2:3], s[0:1], 0x0
	v_and_b32_e32 v1, 0x3ff, v0
	v_bfe_u32 v0, v0, 10, 10
	s_waitcnt lgkmcnt(0)
	s_lshr_b32 s5, s4, 16
	s_and_b32 s4, s4, 0xffff
	s_delay_alu instid0(SALU_CYCLE_1) | instskip(SKIP_1) | instid1(VALU_DEP_2)
	v_mad_u64_u32 v[3:4], null, s13, s4, v[1:2]
	v_mad_u64_u32 v[4:5], null, s14, s5, v[0:1]
	v_cmp_gt_u32_e32 vcc_lo, s2, v3
	s_delay_alu instid0(VALU_DEP_2) | instskip(NEXT) | instid1(VALU_DEP_1)
	v_cmp_gt_u32_e64 s2, s3, v4
	s_and_b32 s2, vcc_lo, s2
	s_delay_alu instid0(SALU_CYCLE_1)
	s_and_saveexec_b32 s3, s2
	s_cbranch_execz .LBB30_6
; %bb.1:
	s_load_b64 s[2:3], s[0:1], 0x10
	s_mov_b32 s4, exec_lo
                                        ; implicit-def: $sgpr5
                                        ; implicit-def: $vgpr0
	v_cmpx_ne_u32_e64 v3, v4
	s_xor_b32 s4, exec_lo, s4
	s_cbranch_execz .LBB30_3
; %bb.2:
	s_waitcnt lgkmcnt(0)
	v_mad_u64_u32 v[0:1], null, v4, s3, v[3:4]
	s_mov_b32 s5, 0
                                        ; implicit-def: $vgpr3_vgpr4
.LBB30_3:
	s_or_saveexec_b32 s4, s4
	v_mov_b32_e32 v2, s5
	s_xor_b32 exec_lo, exec_lo, s4
	s_cbranch_execz .LBB30_5
; %bb.4:
	s_waitcnt lgkmcnt(0)
	v_mad_u64_u32 v[0:1], null, v3, s3, v[3:4]
	v_mov_b32_e32 v2, 1.0
.LBB30_5:
	s_or_b32 exec_lo, exec_lo, s4
	s_clause 0x1
	s_load_b64 s[4:5], s[0:1], 0x18
	s_load_b64 s[0:1], s[0:1], 0x8
	v_mov_b32_e32 v1, 0
	s_delay_alu instid0(VALU_DEP_1)
	v_lshlrev_b64 v[3:4], 3, v[0:1]
	s_waitcnt lgkmcnt(0)
	s_mul_i32 s3, s15, s5
	s_mul_hi_u32 s5, s15, s4
	s_mul_i32 s4, s15, s4
	s_add_i32 s5, s5, s3
	s_ashr_i32 s3, s2, 31
	s_lshl_b64 s[4:5], s[4:5], 3
	s_delay_alu instid0(SALU_CYCLE_1) | instskip(SKIP_2) | instid1(SALU_CYCLE_1)
	s_add_u32 s4, s0, s4
	s_addc_u32 s5, s1, s5
	s_lshl_b64 s[0:1], s[2:3], 3
	s_add_u32 s0, s4, s0
	s_addc_u32 s1, s5, s1
	v_add_co_u32 v5, vcc_lo, s0, v3
	v_add_co_ci_u32_e32 v6, vcc_lo, s1, v4, vcc_lo
	v_mov_b32_e32 v3, v1
	global_store_b64 v[5:6], v[2:3], off
.LBB30_6:
	s_nop 0
	s_sendmsg sendmsg(MSG_DEALLOC_VGPRS)
	s_endpgm
	.section	.rodata,"a",@progbits
	.p2align	6, 0x0
	.amdhsa_kernel _ZN9rocsolver6v33100L10init_identI19rocblas_complex_numIfEPS3_EEviiT0_iil
		.amdhsa_group_segment_fixed_size 0
		.amdhsa_private_segment_fixed_size 0
		.amdhsa_kernarg_size 288
		.amdhsa_user_sgpr_count 13
		.amdhsa_user_sgpr_dispatch_ptr 0
		.amdhsa_user_sgpr_queue_ptr 0
		.amdhsa_user_sgpr_kernarg_segment_ptr 1
		.amdhsa_user_sgpr_dispatch_id 0
		.amdhsa_user_sgpr_private_segment_size 0
		.amdhsa_wavefront_size32 1
		.amdhsa_uses_dynamic_stack 0
		.amdhsa_enable_private_segment 0
		.amdhsa_system_sgpr_workgroup_id_x 1
		.amdhsa_system_sgpr_workgroup_id_y 1
		.amdhsa_system_sgpr_workgroup_id_z 1
		.amdhsa_system_sgpr_workgroup_info 0
		.amdhsa_system_vgpr_workitem_id 1
		.amdhsa_next_free_vgpr 7
		.amdhsa_next_free_sgpr 16
		.amdhsa_reserve_vcc 1
		.amdhsa_float_round_mode_32 0
		.amdhsa_float_round_mode_16_64 0
		.amdhsa_float_denorm_mode_32 3
		.amdhsa_float_denorm_mode_16_64 3
		.amdhsa_dx10_clamp 1
		.amdhsa_ieee_mode 1
		.amdhsa_fp16_overflow 0
		.amdhsa_workgroup_processor_mode 1
		.amdhsa_memory_ordered 1
		.amdhsa_forward_progress 0
		.amdhsa_shared_vgpr_count 0
		.amdhsa_exception_fp_ieee_invalid_op 0
		.amdhsa_exception_fp_denorm_src 0
		.amdhsa_exception_fp_ieee_div_zero 0
		.amdhsa_exception_fp_ieee_overflow 0
		.amdhsa_exception_fp_ieee_underflow 0
		.amdhsa_exception_fp_ieee_inexact 0
		.amdhsa_exception_int_div_zero 0
	.end_amdhsa_kernel
	.section	.text._ZN9rocsolver6v33100L10init_identI19rocblas_complex_numIfEPS3_EEviiT0_iil,"axG",@progbits,_ZN9rocsolver6v33100L10init_identI19rocblas_complex_numIfEPS3_EEviiT0_iil,comdat
.Lfunc_end30:
	.size	_ZN9rocsolver6v33100L10init_identI19rocblas_complex_numIfEPS3_EEviiT0_iil, .Lfunc_end30-_ZN9rocsolver6v33100L10init_identI19rocblas_complex_numIfEPS3_EEviiT0_iil
                                        ; -- End function
	.section	.AMDGPU.csdata,"",@progbits
; Kernel info:
; codeLenInByte = 308
; NumSgprs: 18
; NumVgprs: 7
; ScratchSize: 0
; MemoryBound: 0
; FloatMode: 240
; IeeeMode: 1
; LDSByteSize: 0 bytes/workgroup (compile time only)
; SGPRBlocks: 2
; VGPRBlocks: 0
; NumSGPRsForWavesPerEU: 18
; NumVGPRsForWavesPerEU: 7
; Occupancy: 16
; WaveLimiterHint : 0
; COMPUTE_PGM_RSRC2:SCRATCH_EN: 0
; COMPUTE_PGM_RSRC2:USER_SGPR: 13
; COMPUTE_PGM_RSRC2:TRAP_HANDLER: 0
; COMPUTE_PGM_RSRC2:TGID_X_EN: 1
; COMPUTE_PGM_RSRC2:TGID_Y_EN: 1
; COMPUTE_PGM_RSRC2:TGID_Z_EN: 1
; COMPUTE_PGM_RSRC2:TIDIG_COMP_CNT: 1
	.section	.text._ZN9rocsolver6v33100L8copy_matI19rocblas_complex_numIfEfLb1EPS3_TnNSt9enable_ifIX18rocblas_is_complexIT_EEiE4typeELi0EEEvNS0_17copymat_directionEiiT2_iilPT0_13rocblas_fill_17rocblas_diagonal_,"axG",@progbits,_ZN9rocsolver6v33100L8copy_matI19rocblas_complex_numIfEfLb1EPS3_TnNSt9enable_ifIX18rocblas_is_complexIT_EEiE4typeELi0EEEvNS0_17copymat_directionEiiT2_iilPT0_13rocblas_fill_17rocblas_diagonal_,comdat
	.globl	_ZN9rocsolver6v33100L8copy_matI19rocblas_complex_numIfEfLb1EPS3_TnNSt9enable_ifIX18rocblas_is_complexIT_EEiE4typeELi0EEEvNS0_17copymat_directionEiiT2_iilPT0_13rocblas_fill_17rocblas_diagonal_ ; -- Begin function _ZN9rocsolver6v33100L8copy_matI19rocblas_complex_numIfEfLb1EPS3_TnNSt9enable_ifIX18rocblas_is_complexIT_EEiE4typeELi0EEEvNS0_17copymat_directionEiiT2_iilPT0_13rocblas_fill_17rocblas_diagonal_
	.p2align	8
	.type	_ZN9rocsolver6v33100L8copy_matI19rocblas_complex_numIfEfLb1EPS3_TnNSt9enable_ifIX18rocblas_is_complexIT_EEiE4typeELi0EEEvNS0_17copymat_directionEiiT2_iilPT0_13rocblas_fill_17rocblas_diagonal_,@function
_ZN9rocsolver6v33100L8copy_matI19rocblas_complex_numIfEfLb1EPS3_TnNSt9enable_ifIX18rocblas_is_complexIT_EEiE4typeELi0EEEvNS0_17copymat_directionEiiT2_iilPT0_13rocblas_fill_17rocblas_diagonal_: ; @_ZN9rocsolver6v33100L8copy_matI19rocblas_complex_numIfEfLb1EPS3_TnNSt9enable_ifIX18rocblas_is_complexIT_EEiE4typeELi0EEEvNS0_17copymat_directionEiiT2_iilPT0_13rocblas_fill_17rocblas_diagonal_
; %bb.0:
	s_clause 0x1
	s_load_b32 s2, s[0:1], 0x44
	s_load_b128 s[8:11], s[0:1], 0x0
	v_and_b32_e32 v2, 0x3ff, v0
	v_bfe_u32 v3, v0, 10, 10
	s_waitcnt lgkmcnt(0)
	s_lshr_b32 s3, s2, 16
	s_and_b32 s2, s2, 0xffff
	s_delay_alu instid0(VALU_DEP_1) | instid1(SALU_CYCLE_1)
	v_mad_u64_u32 v[0:1], null, s13, s2, v[2:3]
	v_mad_u64_u32 v[1:2], null, s14, s3, v[3:4]
	s_delay_alu instid0(VALU_DEP_2) | instskip(NEXT) | instid1(VALU_DEP_2)
	v_cmp_gt_u32_e32 vcc_lo, s9, v0
	v_cmp_gt_u32_e64 s2, s10, v1
	s_delay_alu instid0(VALU_DEP_1) | instskip(NEXT) | instid1(SALU_CYCLE_1)
	s_and_b32 s2, s2, vcc_lo
	s_and_saveexec_b32 s3, s2
	s_cbranch_execz .LBB31_16
; %bb.1:
	s_load_b64 s[4:5], s[0:1], 0x30
	s_mov_b32 s11, s9
	s_waitcnt lgkmcnt(0)
	s_cmpk_lt_i32 s4, 0x7a
	s_cbranch_scc1 .LBB31_4
; %bb.2:
	s_cmpk_gt_i32 s4, 0x7a
	s_cbranch_scc0 .LBB31_5
; %bb.3:
	s_cmpk_lg_i32 s4, 0x7b
	s_mov_b32 s3, -1
	s_cselect_b32 s6, -1, 0
	s_cbranch_execz .LBB31_6
	s_branch .LBB31_7
.LBB31_4:
	s_mov_b32 s6, 0
	s_mov_b32 s3, 0
	s_cbranch_execnz .LBB31_8
	s_branch .LBB31_10
.LBB31_5:
	s_mov_b32 s3, 0
	s_mov_b32 s6, 0
.LBB31_6:
	v_cmp_gt_u32_e32 vcc_lo, v0, v1
	v_cmp_le_u32_e64 s2, v0, v1
	s_and_not1_b32 s3, s3, exec_lo
	s_and_not1_b32 s6, s6, exec_lo
	s_and_b32 s7, vcc_lo, exec_lo
	s_delay_alu instid0(VALU_DEP_1)
	s_and_b32 s2, s2, exec_lo
	s_or_b32 s3, s3, s7
	s_or_b32 s6, s6, s2
.LBB31_7:
	s_branch .LBB31_10
.LBB31_8:
	s_cmpk_eq_i32 s4, 0x79
	s_mov_b32 s6, -1
	s_cbranch_scc0 .LBB31_10
; %bb.9:
	v_cmp_gt_u32_e32 vcc_lo, v1, v0
	v_cmp_le_u32_e64 s2, v1, v0
	s_and_not1_b32 s3, s3, exec_lo
	s_and_b32 s4, vcc_lo, exec_lo
	s_delay_alu instid0(VALU_DEP_1)
	s_or_not1_b32 s6, s2, exec_lo
	s_or_b32 s3, s3, s4
.LBB31_10:
	s_and_saveexec_b32 s2, s6
; %bb.11:
	v_cmp_eq_u32_e32 vcc_lo, v0, v1
	s_cmpk_eq_i32 s5, 0x83
	s_cselect_b32 s4, -1, 0
	s_and_not1_b32 s3, s3, exec_lo
	s_and_b32 s4, s4, vcc_lo
	s_delay_alu instid0(SALU_CYCLE_1) | instskip(NEXT) | instid1(SALU_CYCLE_1)
	s_and_b32 s4, s4, exec_lo
	s_or_b32 s3, s3, s4
; %bb.12:
	s_or_b32 exec_lo, exec_lo, s2
	s_delay_alu instid0(SALU_CYCLE_1)
	s_and_b32 exec_lo, exec_lo, s3
	s_cbranch_execz .LBB31_16
; %bb.13:
	s_load_b256 s[0:7], s[0:1], 0x10
	s_ashr_i32 s12, s9, 31
	s_ashr_i32 s13, s10, 31
	s_mul_i32 s16, s12, s15
	s_mul_hi_u32 s14, s9, s15
	s_mul_i32 s9, s9, s15
	s_delay_alu instid0(SALU_CYCLE_1)
	s_mul_i32 s17, s9, s13
	s_waitcnt lgkmcnt(0)
	s_mul_i32 s5, s15, s5
	s_mul_hi_u32 s12, s15, s4
	s_mul_i32 s4, s15, s4
	s_add_i32 s5, s12, s5
	s_ashr_i32 s13, s2, 31
	s_lshl_b64 s[4:5], s[4:5], 3
	s_mov_b32 s12, s2
	s_add_u32 s2, s0, s4
	s_addc_u32 s4, s1, s5
	s_lshl_b64 s[0:1], s[12:13], 3
	s_mul_hi_u32 s5, s9, s10
	s_add_u32 s0, s2, s0
	s_addc_u32 s1, s4, s1
	s_add_i32 s2, s14, s16
	s_add_i32 s4, s5, s17
	s_mul_i32 s2, s2, s10
	s_delay_alu instid0(SALU_CYCLE_1) | instskip(SKIP_1) | instid1(SALU_CYCLE_1)
	s_add_i32 s5, s4, s2
	s_mul_i32 s4, s9, s10
	s_lshl_b64 s[4:5], s[4:5], 2
	s_delay_alu instid0(SALU_CYCLE_1)
	s_add_u32 s2, s6, s4
	s_addc_u32 s4, s7, s5
	s_cmp_lg_u32 s8, 0
	s_mov_b32 s5, 0
	s_cbranch_scc0 .LBB31_17
; %bb.14:
	v_mad_u64_u32 v[2:3], null, v1, s11, v[0:1]
	v_mov_b32_e32 v3, 0
	s_delay_alu instid0(VALU_DEP_1) | instskip(NEXT) | instid1(VALU_DEP_1)
	v_lshlrev_b64 v[4:5], 2, v[2:3]
	v_add_co_u32 v4, vcc_lo, s2, v4
	s_delay_alu instid0(VALU_DEP_2) | instskip(SKIP_3) | instid1(VALU_DEP_1)
	v_add_co_ci_u32_e32 v5, vcc_lo, s4, v5, vcc_lo
	global_load_b32 v6, v[4:5], off
	v_mad_u64_u32 v[4:5], null, v1, s3, v[0:1]
	v_mov_b32_e32 v5, v3
	v_lshlrev_b64 v[2:3], 3, v[4:5]
	s_delay_alu instid0(VALU_DEP_1) | instskip(NEXT) | instid1(VALU_DEP_2)
	v_add_co_u32 v2, vcc_lo, s0, v2
	v_add_co_ci_u32_e32 v3, vcc_lo, s1, v3, vcc_lo
	s_waitcnt vmcnt(0)
	global_store_b32 v[2:3], v6, off
	s_and_not1_b32 vcc_lo, exec_lo, s5
	s_cbranch_vccnz .LBB31_16
.LBB31_15:
	v_mad_u64_u32 v[2:3], null, v1, s3, v[0:1]
	v_mov_b32_e32 v3, 0
	s_delay_alu instid0(VALU_DEP_1) | instskip(NEXT) | instid1(VALU_DEP_1)
	v_lshlrev_b64 v[4:5], 3, v[2:3]
	v_add_co_u32 v4, vcc_lo, s0, v4
	s_delay_alu instid0(VALU_DEP_2) | instskip(SKIP_3) | instid1(VALU_DEP_1)
	v_add_co_ci_u32_e32 v5, vcc_lo, s1, v5, vcc_lo
	global_load_b32 v2, v[4:5], off
	v_mad_u64_u32 v[4:5], null, v1, s11, v[0:1]
	v_mov_b32_e32 v5, v3
	v_lshlrev_b64 v[0:1], 2, v[4:5]
	s_delay_alu instid0(VALU_DEP_1) | instskip(NEXT) | instid1(VALU_DEP_2)
	v_add_co_u32 v0, vcc_lo, s2, v0
	v_add_co_ci_u32_e32 v1, vcc_lo, s4, v1, vcc_lo
	s_waitcnt vmcnt(0)
	global_store_b32 v[0:1], v2, off
.LBB31_16:
	s_nop 0
	s_sendmsg sendmsg(MSG_DEALLOC_VGPRS)
	s_endpgm
.LBB31_17:
	s_branch .LBB31_15
	.section	.rodata,"a",@progbits
	.p2align	6, 0x0
	.amdhsa_kernel _ZN9rocsolver6v33100L8copy_matI19rocblas_complex_numIfEfLb1EPS3_TnNSt9enable_ifIX18rocblas_is_complexIT_EEiE4typeELi0EEEvNS0_17copymat_directionEiiT2_iilPT0_13rocblas_fill_17rocblas_diagonal_
		.amdhsa_group_segment_fixed_size 0
		.amdhsa_private_segment_fixed_size 0
		.amdhsa_kernarg_size 312
		.amdhsa_user_sgpr_count 13
		.amdhsa_user_sgpr_dispatch_ptr 0
		.amdhsa_user_sgpr_queue_ptr 0
		.amdhsa_user_sgpr_kernarg_segment_ptr 1
		.amdhsa_user_sgpr_dispatch_id 0
		.amdhsa_user_sgpr_private_segment_size 0
		.amdhsa_wavefront_size32 1
		.amdhsa_uses_dynamic_stack 0
		.amdhsa_enable_private_segment 0
		.amdhsa_system_sgpr_workgroup_id_x 1
		.amdhsa_system_sgpr_workgroup_id_y 1
		.amdhsa_system_sgpr_workgroup_id_z 1
		.amdhsa_system_sgpr_workgroup_info 0
		.amdhsa_system_vgpr_workitem_id 1
		.amdhsa_next_free_vgpr 7
		.amdhsa_next_free_sgpr 18
		.amdhsa_reserve_vcc 1
		.amdhsa_float_round_mode_32 0
		.amdhsa_float_round_mode_16_64 0
		.amdhsa_float_denorm_mode_32 3
		.amdhsa_float_denorm_mode_16_64 3
		.amdhsa_dx10_clamp 1
		.amdhsa_ieee_mode 1
		.amdhsa_fp16_overflow 0
		.amdhsa_workgroup_processor_mode 1
		.amdhsa_memory_ordered 1
		.amdhsa_forward_progress 0
		.amdhsa_shared_vgpr_count 0
		.amdhsa_exception_fp_ieee_invalid_op 0
		.amdhsa_exception_fp_denorm_src 0
		.amdhsa_exception_fp_ieee_div_zero 0
		.amdhsa_exception_fp_ieee_overflow 0
		.amdhsa_exception_fp_ieee_underflow 0
		.amdhsa_exception_fp_ieee_inexact 0
		.amdhsa_exception_int_div_zero 0
	.end_amdhsa_kernel
	.section	.text._ZN9rocsolver6v33100L8copy_matI19rocblas_complex_numIfEfLb1EPS3_TnNSt9enable_ifIX18rocblas_is_complexIT_EEiE4typeELi0EEEvNS0_17copymat_directionEiiT2_iilPT0_13rocblas_fill_17rocblas_diagonal_,"axG",@progbits,_ZN9rocsolver6v33100L8copy_matI19rocblas_complex_numIfEfLb1EPS3_TnNSt9enable_ifIX18rocblas_is_complexIT_EEiE4typeELi0EEEvNS0_17copymat_directionEiiT2_iilPT0_13rocblas_fill_17rocblas_diagonal_,comdat
.Lfunc_end31:
	.size	_ZN9rocsolver6v33100L8copy_matI19rocblas_complex_numIfEfLb1EPS3_TnNSt9enable_ifIX18rocblas_is_complexIT_EEiE4typeELi0EEEvNS0_17copymat_directionEiiT2_iilPT0_13rocblas_fill_17rocblas_diagonal_, .Lfunc_end31-_ZN9rocsolver6v33100L8copy_matI19rocblas_complex_numIfEfLb1EPS3_TnNSt9enable_ifIX18rocblas_is_complexIT_EEiE4typeELi0EEEvNS0_17copymat_directionEiiT2_iilPT0_13rocblas_fill_17rocblas_diagonal_
                                        ; -- End function
	.section	.AMDGPU.csdata,"",@progbits
; Kernel info:
; codeLenInByte = 680
; NumSgprs: 20
; NumVgprs: 7
; ScratchSize: 0
; MemoryBound: 0
; FloatMode: 240
; IeeeMode: 1
; LDSByteSize: 0 bytes/workgroup (compile time only)
; SGPRBlocks: 2
; VGPRBlocks: 0
; NumSGPRsForWavesPerEU: 20
; NumVGPRsForWavesPerEU: 7
; Occupancy: 16
; WaveLimiterHint : 0
; COMPUTE_PGM_RSRC2:SCRATCH_EN: 0
; COMPUTE_PGM_RSRC2:USER_SGPR: 13
; COMPUTE_PGM_RSRC2:TRAP_HANDLER: 0
; COMPUTE_PGM_RSRC2:TGID_X_EN: 1
; COMPUTE_PGM_RSRC2:TGID_Y_EN: 1
; COMPUTE_PGM_RSRC2:TGID_Z_EN: 1
; COMPUTE_PGM_RSRC2:TIDIG_COMP_CNT: 1
	.section	.text._ZN9rocsolver6v33100L8copy_matI19rocblas_complex_numIfEfLb0EPS3_TnNSt9enable_ifIX18rocblas_is_complexIT_EEiE4typeELi0EEEvNS0_17copymat_directionEiiT2_iilPT0_13rocblas_fill_17rocblas_diagonal_,"axG",@progbits,_ZN9rocsolver6v33100L8copy_matI19rocblas_complex_numIfEfLb0EPS3_TnNSt9enable_ifIX18rocblas_is_complexIT_EEiE4typeELi0EEEvNS0_17copymat_directionEiiT2_iilPT0_13rocblas_fill_17rocblas_diagonal_,comdat
	.globl	_ZN9rocsolver6v33100L8copy_matI19rocblas_complex_numIfEfLb0EPS3_TnNSt9enable_ifIX18rocblas_is_complexIT_EEiE4typeELi0EEEvNS0_17copymat_directionEiiT2_iilPT0_13rocblas_fill_17rocblas_diagonal_ ; -- Begin function _ZN9rocsolver6v33100L8copy_matI19rocblas_complex_numIfEfLb0EPS3_TnNSt9enable_ifIX18rocblas_is_complexIT_EEiE4typeELi0EEEvNS0_17copymat_directionEiiT2_iilPT0_13rocblas_fill_17rocblas_diagonal_
	.p2align	8
	.type	_ZN9rocsolver6v33100L8copy_matI19rocblas_complex_numIfEfLb0EPS3_TnNSt9enable_ifIX18rocblas_is_complexIT_EEiE4typeELi0EEEvNS0_17copymat_directionEiiT2_iilPT0_13rocblas_fill_17rocblas_diagonal_,@function
_ZN9rocsolver6v33100L8copy_matI19rocblas_complex_numIfEfLb0EPS3_TnNSt9enable_ifIX18rocblas_is_complexIT_EEiE4typeELi0EEEvNS0_17copymat_directionEiiT2_iilPT0_13rocblas_fill_17rocblas_diagonal_: ; @_ZN9rocsolver6v33100L8copy_matI19rocblas_complex_numIfEfLb0EPS3_TnNSt9enable_ifIX18rocblas_is_complexIT_EEiE4typeELi0EEEvNS0_17copymat_directionEiiT2_iilPT0_13rocblas_fill_17rocblas_diagonal_
; %bb.0:
	s_clause 0x1
	s_load_b32 s2, s[0:1], 0x44
	s_load_b128 s[8:11], s[0:1], 0x0
	v_and_b32_e32 v2, 0x3ff, v0
	v_bfe_u32 v3, v0, 10, 10
	s_waitcnt lgkmcnt(0)
	s_lshr_b32 s3, s2, 16
	s_and_b32 s2, s2, 0xffff
	s_delay_alu instid0(VALU_DEP_1) | instid1(SALU_CYCLE_1)
	v_mad_u64_u32 v[0:1], null, s13, s2, v[2:3]
	v_mad_u64_u32 v[1:2], null, s14, s3, v[3:4]
	s_delay_alu instid0(VALU_DEP_2) | instskip(NEXT) | instid1(VALU_DEP_2)
	v_cmp_gt_u32_e32 vcc_lo, s9, v0
	v_cmp_gt_u32_e64 s2, s10, v1
	s_delay_alu instid0(VALU_DEP_1) | instskip(NEXT) | instid1(SALU_CYCLE_1)
	s_and_b32 s2, s2, vcc_lo
	s_and_saveexec_b32 s3, s2
	s_cbranch_execz .LBB32_16
; %bb.1:
	s_load_b64 s[4:5], s[0:1], 0x30
	s_mov_b32 s11, s9
	s_waitcnt lgkmcnt(0)
	s_cmpk_lt_i32 s4, 0x7a
	s_cbranch_scc1 .LBB32_4
; %bb.2:
	s_cmpk_gt_i32 s4, 0x7a
	s_cbranch_scc0 .LBB32_5
; %bb.3:
	s_cmpk_lg_i32 s4, 0x7b
	s_mov_b32 s3, -1
	s_cselect_b32 s6, -1, 0
	s_cbranch_execz .LBB32_6
	s_branch .LBB32_7
.LBB32_4:
	s_mov_b32 s6, 0
	s_mov_b32 s3, 0
	s_cbranch_execnz .LBB32_8
	s_branch .LBB32_10
.LBB32_5:
	s_mov_b32 s3, 0
	s_mov_b32 s6, 0
.LBB32_6:
	v_cmp_gt_u32_e32 vcc_lo, v0, v1
	v_cmp_le_u32_e64 s2, v0, v1
	s_and_not1_b32 s3, s3, exec_lo
	s_and_not1_b32 s6, s6, exec_lo
	s_and_b32 s7, vcc_lo, exec_lo
	s_delay_alu instid0(VALU_DEP_1)
	s_and_b32 s2, s2, exec_lo
	s_or_b32 s3, s3, s7
	s_or_b32 s6, s6, s2
.LBB32_7:
	s_branch .LBB32_10
.LBB32_8:
	s_cmpk_eq_i32 s4, 0x79
	s_mov_b32 s6, -1
	s_cbranch_scc0 .LBB32_10
; %bb.9:
	v_cmp_gt_u32_e32 vcc_lo, v1, v0
	v_cmp_le_u32_e64 s2, v1, v0
	s_and_not1_b32 s3, s3, exec_lo
	s_and_b32 s4, vcc_lo, exec_lo
	s_delay_alu instid0(VALU_DEP_1)
	s_or_not1_b32 s6, s2, exec_lo
	s_or_b32 s3, s3, s4
.LBB32_10:
	s_and_saveexec_b32 s2, s6
; %bb.11:
	v_cmp_eq_u32_e32 vcc_lo, v0, v1
	s_cmpk_eq_i32 s5, 0x83
	s_cselect_b32 s4, -1, 0
	s_and_not1_b32 s3, s3, exec_lo
	s_and_b32 s4, s4, vcc_lo
	s_delay_alu instid0(SALU_CYCLE_1) | instskip(NEXT) | instid1(SALU_CYCLE_1)
	s_and_b32 s4, s4, exec_lo
	s_or_b32 s3, s3, s4
; %bb.12:
	s_or_b32 exec_lo, exec_lo, s2
	s_delay_alu instid0(SALU_CYCLE_1)
	s_and_b32 exec_lo, exec_lo, s3
	s_cbranch_execz .LBB32_16
; %bb.13:
	s_load_b256 s[0:7], s[0:1], 0x10
	s_ashr_i32 s12, s9, 31
	s_ashr_i32 s13, s10, 31
	s_mul_i32 s16, s12, s15
	s_mul_hi_u32 s14, s9, s15
	s_mul_i32 s9, s9, s15
	s_delay_alu instid0(SALU_CYCLE_1)
	s_mul_i32 s17, s9, s13
	s_mul_hi_u32 s18, s9, s10
	s_waitcnt lgkmcnt(0)
	s_mul_i32 s5, s15, s5
	s_mul_hi_u32 s12, s15, s4
	s_mul_i32 s4, s15, s4
	s_add_i32 s5, s12, s5
	s_ashr_i32 s13, s2, 31
	s_lshl_b64 s[4:5], s[4:5], 3
	s_mov_b32 s12, s2
	s_add_u32 s2, s0, s4
	s_addc_u32 s4, s1, s5
	s_lshl_b64 s[0:1], s[12:13], 3
	v_mad_u64_u32 v[3:4], null, v1, s3, v[0:1]
	s_add_u32 s0, s2, s0
	s_addc_u32 s1, s4, s1
	s_add_i32 s2, s14, s16
	v_mov_b32_e32 v4, 0
	s_add_i32 s3, s18, s17
	s_mul_i32 s2, s2, s10
	s_mov_b32 s4, 0
	s_add_i32 s3, s3, s2
	s_mul_i32 s2, s9, s10
	v_lshlrev_b64 v[2:3], 3, v[3:4]
	s_lshl_b64 s[2:3], s[2:3], 2
	s_delay_alu instid0(SALU_CYCLE_1)
	s_add_u32 s2, s6, s2
	s_addc_u32 s3, s7, s3
	s_cmp_lg_u32 s8, 0
	s_cbranch_scc0 .LBB32_17
; %bb.14:
	v_mad_u64_u32 v[5:6], null, v1, s11, v[0:1]
	v_mov_b32_e32 v6, v4
	s_delay_alu instid0(VALU_DEP_1) | instskip(NEXT) | instid1(VALU_DEP_1)
	v_lshlrev_b64 v[4:5], 2, v[5:6]
	v_add_co_u32 v4, vcc_lo, s2, v4
	s_delay_alu instid0(VALU_DEP_2)
	v_add_co_ci_u32_e32 v5, vcc_lo, s3, v5, vcc_lo
	global_load_b32 v6, v[4:5], off
	v_add_co_u32 v4, vcc_lo, s0, v2
	v_add_co_ci_u32_e32 v5, vcc_lo, s1, v3, vcc_lo
	s_waitcnt vmcnt(0)
	global_store_b32 v[4:5], v6, off offset:4
	s_and_not1_b32 vcc_lo, exec_lo, s4
	s_cbranch_vccnz .LBB32_16
.LBB32_15:
	v_add_co_u32 v2, vcc_lo, s0, v2
	v_add_co_ci_u32_e32 v3, vcc_lo, s1, v3, vcc_lo
	global_load_b32 v4, v[2:3], off offset:4
	v_mad_u64_u32 v[2:3], null, v1, s11, v[0:1]
	v_mov_b32_e32 v3, 0
	s_delay_alu instid0(VALU_DEP_1) | instskip(NEXT) | instid1(VALU_DEP_1)
	v_lshlrev_b64 v[0:1], 2, v[2:3]
	v_add_co_u32 v0, vcc_lo, s2, v0
	s_delay_alu instid0(VALU_DEP_2)
	v_add_co_ci_u32_e32 v1, vcc_lo, s3, v1, vcc_lo
	s_waitcnt vmcnt(0)
	global_store_b32 v[0:1], v4, off
.LBB32_16:
	s_nop 0
	s_sendmsg sendmsg(MSG_DEALLOC_VGPRS)
	s_endpgm
.LBB32_17:
	s_branch .LBB32_15
	.section	.rodata,"a",@progbits
	.p2align	6, 0x0
	.amdhsa_kernel _ZN9rocsolver6v33100L8copy_matI19rocblas_complex_numIfEfLb0EPS3_TnNSt9enable_ifIX18rocblas_is_complexIT_EEiE4typeELi0EEEvNS0_17copymat_directionEiiT2_iilPT0_13rocblas_fill_17rocblas_diagonal_
		.amdhsa_group_segment_fixed_size 0
		.amdhsa_private_segment_fixed_size 0
		.amdhsa_kernarg_size 312
		.amdhsa_user_sgpr_count 13
		.amdhsa_user_sgpr_dispatch_ptr 0
		.amdhsa_user_sgpr_queue_ptr 0
		.amdhsa_user_sgpr_kernarg_segment_ptr 1
		.amdhsa_user_sgpr_dispatch_id 0
		.amdhsa_user_sgpr_private_segment_size 0
		.amdhsa_wavefront_size32 1
		.amdhsa_uses_dynamic_stack 0
		.amdhsa_enable_private_segment 0
		.amdhsa_system_sgpr_workgroup_id_x 1
		.amdhsa_system_sgpr_workgroup_id_y 1
		.amdhsa_system_sgpr_workgroup_id_z 1
		.amdhsa_system_sgpr_workgroup_info 0
		.amdhsa_system_vgpr_workitem_id 1
		.amdhsa_next_free_vgpr 7
		.amdhsa_next_free_sgpr 19
		.amdhsa_reserve_vcc 1
		.amdhsa_float_round_mode_32 0
		.amdhsa_float_round_mode_16_64 0
		.amdhsa_float_denorm_mode_32 3
		.amdhsa_float_denorm_mode_16_64 3
		.amdhsa_dx10_clamp 1
		.amdhsa_ieee_mode 1
		.amdhsa_fp16_overflow 0
		.amdhsa_workgroup_processor_mode 1
		.amdhsa_memory_ordered 1
		.amdhsa_forward_progress 0
		.amdhsa_shared_vgpr_count 0
		.amdhsa_exception_fp_ieee_invalid_op 0
		.amdhsa_exception_fp_denorm_src 0
		.amdhsa_exception_fp_ieee_div_zero 0
		.amdhsa_exception_fp_ieee_overflow 0
		.amdhsa_exception_fp_ieee_underflow 0
		.amdhsa_exception_fp_ieee_inexact 0
		.amdhsa_exception_int_div_zero 0
	.end_amdhsa_kernel
	.section	.text._ZN9rocsolver6v33100L8copy_matI19rocblas_complex_numIfEfLb0EPS3_TnNSt9enable_ifIX18rocblas_is_complexIT_EEiE4typeELi0EEEvNS0_17copymat_directionEiiT2_iilPT0_13rocblas_fill_17rocblas_diagonal_,"axG",@progbits,_ZN9rocsolver6v33100L8copy_matI19rocblas_complex_numIfEfLb0EPS3_TnNSt9enable_ifIX18rocblas_is_complexIT_EEiE4typeELi0EEEvNS0_17copymat_directionEiiT2_iilPT0_13rocblas_fill_17rocblas_diagonal_,comdat
.Lfunc_end32:
	.size	_ZN9rocsolver6v33100L8copy_matI19rocblas_complex_numIfEfLb0EPS3_TnNSt9enable_ifIX18rocblas_is_complexIT_EEiE4typeELi0EEEvNS0_17copymat_directionEiiT2_iilPT0_13rocblas_fill_17rocblas_diagonal_, .Lfunc_end32-_ZN9rocsolver6v33100L8copy_matI19rocblas_complex_numIfEfLb0EPS3_TnNSt9enable_ifIX18rocblas_is_complexIT_EEiE4typeELi0EEEvNS0_17copymat_directionEiiT2_iilPT0_13rocblas_fill_17rocblas_diagonal_
                                        ; -- End function
	.section	.AMDGPU.csdata,"",@progbits
; Kernel info:
; codeLenInByte = 648
; NumSgprs: 21
; NumVgprs: 7
; ScratchSize: 0
; MemoryBound: 0
; FloatMode: 240
; IeeeMode: 1
; LDSByteSize: 0 bytes/workgroup (compile time only)
; SGPRBlocks: 2
; VGPRBlocks: 0
; NumSGPRsForWavesPerEU: 21
; NumVGPRsForWavesPerEU: 7
; Occupancy: 16
; WaveLimiterHint : 0
; COMPUTE_PGM_RSRC2:SCRATCH_EN: 0
; COMPUTE_PGM_RSRC2:USER_SGPR: 13
; COMPUTE_PGM_RSRC2:TRAP_HANDLER: 0
; COMPUTE_PGM_RSRC2:TGID_X_EN: 1
; COMPUTE_PGM_RSRC2:TGID_Y_EN: 1
; COMPUTE_PGM_RSRC2:TGID_Z_EN: 1
; COMPUTE_PGM_RSRC2:TIDIG_COMP_CNT: 1
	.section	.text._ZN9rocsolver6v33100L11stedcx_sortI19rocblas_complex_numIfEfPS3_EEviPT0_lT1_iiliPiS8_,"axG",@progbits,_ZN9rocsolver6v33100L11stedcx_sortI19rocblas_complex_numIfEfPS3_EEviPT0_lT1_iiliPiS8_,comdat
	.globl	_ZN9rocsolver6v33100L11stedcx_sortI19rocblas_complex_numIfEfPS3_EEviPT0_lT1_iiliPiS8_ ; -- Begin function _ZN9rocsolver6v33100L11stedcx_sortI19rocblas_complex_numIfEfPS3_EEviPT0_lT1_iiliPiS8_
	.p2align	8
	.type	_ZN9rocsolver6v33100L11stedcx_sortI19rocblas_complex_numIfEfPS3_EEviPT0_lT1_iiliPiS8_,@function
_ZN9rocsolver6v33100L11stedcx_sortI19rocblas_complex_numIfEfPS3_EEviPT0_lT1_iiliPiS8_: ; @_ZN9rocsolver6v33100L11stedcx_sortI19rocblas_complex_numIfEfPS3_EEviPT0_lT1_iiliPiS8_
; %bb.0:
	s_load_b32 s30, s[0:1], 0x30
	s_mov_b32 s32, 0
	s_waitcnt lgkmcnt(0)
	s_cmp_ge_i32 s15, s30
	s_cbranch_scc1 .LBB33_69
; %bb.1:
	s_mov_b32 s16, s15
	s_clause 0x4
	s_load_b32 s18, s[0:1], 0x0
	s_load_b128 s[4:7], s[0:1], 0x38
	s_load_b256 s[8:15], s[0:1], 0x8
	s_load_b64 s[20:21], s[0:1], 0x28
	s_load_b32 s31, s[0:1], 0x50
	v_dual_mov_b32 v1, 0 :: v_dual_and_b32 v2, 0x3ff, v0
	v_bfe_u32 v3, v0, 10, 10
	v_bfe_u32 v4, v0, 20, 10
	s_mov_b32 s23, 0
	s_mov_b32 s44, 0
                                        ; implicit-def: $sgpr45
                                        ; implicit-def: $sgpr41
                                        ; implicit-def: $sgpr46
                                        ; implicit-def: $sgpr47
	s_delay_alu instid0(VALU_DEP_1)
	v_or3_b32 v0, v3, v4, v2
	s_waitcnt lgkmcnt(0)
	s_ashr_i32 s19, s18, 31
	s_mul_hi_i32 s3, s18, s16
	s_mul_i32 s2, s18, s16
	s_add_u32 s24, s0, 0x48
	s_addc_u32 s25, s1, 0
	s_lshl_b64 s[2:3], s[2:3], 2
	v_cmp_gt_i64_e64 s19, s[18:19], 0
	s_add_u32 s33, s4, s2
	s_addc_u32 s34, s5, s3
	s_cmp_lg_u64 s[12:13], 0
	s_mov_b32 s2, s14
	s_cselect_b32 s35, -1, 0
	s_ashr_i32 s3, s14, 31
	s_mov_b32 s43, s15
	s_lshl_b64 s[26:27], s[2:3], 3
	v_cmp_eq_u32_e64 s2, 0, v0
	s_add_u32 s36, s12, s26
	s_addc_u32 s37, s13, s27
	s_cmp_lg_u64 s[6:7], 0
	s_cselect_b32 s38, -1, 0
	s_cmp_eq_u64 s[8:9], 0
	s_cselect_b32 s39, -1, 0
	s_cmp_lg_u64 s[4:5], 0
	s_cselect_b32 s40, -1, 0
	s_cmp_gt_i32 s15, 0
	s_cselect_b32 s42, -1, 0
	s_branch .LBB33_4
.LBB33_2:                               ;   in Loop: Header=BB33_4 Depth=1
	s_or_b32 exec_lo, exec_lo, s12
	s_delay_alu instid0(SALU_CYCLE_1)
	s_and_not1_b32 s4, s47, exec_lo
	s_and_b32 s12, s14, exec_lo
	s_and_not1_b32 s13, s46, exec_lo
	s_and_b32 s3, s3, exec_lo
	s_or_b32 s47, s4, s12
	s_or_b32 s46, s13, s3
	s_or_not1_b32 s49, s17, exec_lo
.LBB33_3:                               ;   in Loop: Header=BB33_4 Depth=1
	s_or_b32 exec_lo, exec_lo, s5
	s_delay_alu instid0(SALU_CYCLE_1) | instskip(NEXT) | instid1(SALU_CYCLE_1)
	s_and_b32 s3, exec_lo, s49
	s_or_b32 s44, s3, s44
	s_and_not1_b32 s3, s41, exec_lo
	s_and_b32 s4, s47, exec_lo
	s_and_not1_b32 s5, s45, exec_lo
	s_and_b32 s12, s46, exec_lo
	s_or_b32 s41, s3, s4
	s_or_b32 s45, s5, s12
	s_and_not1_b32 exec_lo, exec_lo, s44
	s_cbranch_execz .LBB33_65
.LBB33_4:                               ; =>This Loop Header: Depth=1
                                        ;     Child Loop BB33_11 Depth 2
                                        ;     Child Loop BB33_15 Depth 2
                                        ;       Child Loop BB33_18 Depth 3
                                        ;         Child Loop BB33_22 Depth 4
                                        ;     Child Loop BB33_32 Depth 2
                                        ;     Child Loop BB33_46 Depth 2
                                        ;       Child Loop BB33_48 Depth 3
                                        ;         Child Loop BB33_53 Depth 4
                                        ;     Child Loop BB33_57 Depth 2
	s_ashr_i32 s17, s16, 31
	s_and_not1_b32 vcc_lo, exec_lo, s35
	s_mov_b64 s[12:13], 0
	s_cbranch_vccnz .LBB33_6
; %bb.5:                                ;   in Loop: Header=BB33_4 Depth=1
	s_mul_i32 s3, s16, s21
	s_mul_hi_u32 s4, s16, s20
	s_mul_i32 s5, s17, s20
	s_add_i32 s3, s4, s3
	s_mul_i32 s4, s16, s20
	s_add_i32 s5, s3, s5
	s_delay_alu instid0(SALU_CYCLE_1) | instskip(NEXT) | instid1(SALU_CYCLE_1)
	s_lshl_b64 s[4:5], s[4:5], 3
	s_add_u32 s12, s36, s4
	s_addc_u32 s13, s37, s5
.LBB33_6:                               ;   in Loop: Header=BB33_4 Depth=1
	s_and_not1_b32 vcc_lo, exec_lo, s38
	s_mov_b32 s48, s18
	s_cbranch_vccnz .LBB33_8
; %bb.7:                                ;   in Loop: Header=BB33_4 Depth=1
	s_lshl_b64 s[4:5], s[16:17], 2
	s_delay_alu instid0(SALU_CYCLE_1)
	s_add_u32 s4, s6, s4
	s_addc_u32 s5, s7, s5
	global_load_b32 v0, v1, s[4:5]
	s_waitcnt vmcnt(0)
	v_readfirstlane_b32 s48, v0
.LBB33_8:                               ;   in Loop: Header=BB33_4 Depth=1
	s_delay_alu instid0(VALU_DEP_1) | instskip(SKIP_4) | instid1(SALU_CYCLE_1)
	s_cmp_lt_i32 s48, 1
	s_mov_b32 s49, -1
	s_cselect_b32 s3, -1, 0
	s_mov_b32 s4, -1
	s_or_b32 s3, s39, s3
	s_and_b32 vcc_lo, exec_lo, s3
	s_barrier
	buffer_gl0_inv
                                        ; implicit-def: $sgpr3
                                        ; implicit-def: $sgpr14
	s_cbranch_vccnz .LBB33_41
; %bb.9:                                ;   in Loop: Header=BB33_4 Depth=1
	s_load_b64 s[4:5], s[24:25], 0xc
	s_waitcnt lgkmcnt(0)
	s_barrier
	buffer_gl0_inv
	s_lshr_b32 s3, s4, 16
	s_and_b32 s4, s4, 0xffff
	s_delay_alu instid0(SALU_CYCLE_1) | instskip(SKIP_3) | instid1(SALU_CYCLE_1)
	s_mul_i32 s50, s3, s4
	v_mul_u32_u24_e32 v5, s4, v3
	v_mul_lo_u32 v0, s50, v4
	s_and_b32 s3, s5, 0xffff
	s_mul_i32 s50, s50, s3
	s_delay_alu instid0(VALU_DEP_1) | instskip(NEXT) | instid1(VALU_DEP_1)
	v_add3_u32 v5, v5, v2, v0
	v_cmp_gt_u32_e32 vcc_lo, s48, v5
	s_and_b32 s4, s40, vcc_lo
	s_delay_alu instid0(SALU_CYCLE_1)
	s_and_saveexec_b32 s3, s4
	s_cbranch_execz .LBB33_12
; %bb.10:                               ;   in Loop: Header=BB33_4 Depth=1
	v_mov_b32_e32 v0, v5
	s_mov_b32 s4, 0
.LBB33_11:                              ;   Parent Loop BB33_4 Depth=1
                                        ; =>  This Inner Loop Header: Depth=2
	s_delay_alu instid0(VALU_DEP_1) | instskip(NEXT) | instid1(VALU_DEP_1)
	v_lshlrev_b64 v[6:7], 2, v[0:1]
	v_add_co_u32 v6, vcc_lo, s33, v6
	s_delay_alu instid0(VALU_DEP_2) | instskip(SKIP_2) | instid1(VALU_DEP_1)
	v_add_co_ci_u32_e32 v7, vcc_lo, s34, v7, vcc_lo
	global_store_b32 v[6:7], v0, off
	v_add_nc_u32_e32 v0, s50, v0
	v_cmp_le_u32_e32 vcc_lo, s48, v0
	s_or_b32 s4, vcc_lo, s4
	s_delay_alu instid0(SALU_CYCLE_1)
	s_and_not1_b32 exec_lo, exec_lo, s4
	s_cbranch_execnz .LBB33_11
.LBB33_12:                              ;   in Loop: Header=BB33_4 Depth=1
	s_or_b32 exec_lo, exec_lo, s3
	s_mul_i32 s3, s16, s11
	s_mul_hi_u32 s4, s16, s10
	s_mul_i32 s5, s17, s10
	s_add_i32 s3, s4, s3
	s_mul_i32 s4, s16, s10
	s_add_i32 s5, s3, s5
	s_waitcnt_vscnt null, 0x0
	s_lshl_b64 s[4:5], s[4:5], 2
	s_barrier
	s_add_u32 s17, s8, s4
	s_addc_u32 s51, s9, s5
	buffer_gl0_inv
	s_and_saveexec_b32 s3, s2
	s_cbranch_execz .LBB33_28
; %bb.13:                               ;   in Loop: Header=BB33_4 Depth=1
	s_mov_b32 s22, 0
	s_branch .LBB33_15
.LBB33_14:                              ;   in Loop: Header=BB33_15 Depth=2
	s_add_i32 s22, s22, 1
	s_delay_alu instid0(SALU_CYCLE_1)
	s_cmp_eq_u32 s22, 8
	s_cbranch_scc1 .LBB33_28
.LBB33_15:                              ;   Parent Loop BB33_4 Depth=1
                                        ; =>  This Loop Header: Depth=2
                                        ;       Child Loop BB33_18 Depth 3
                                        ;         Child Loop BB33_22 Depth 4
	s_getpc_b64 s[4:5]
	s_add_u32 s4, s4, __const._ZN9rocsolver6v33100L20shell_sort_ascendingIfiEEvT0_PT_PS2_.gaps@rel32@lo+4
	s_addc_u32 s5, s5, __const._ZN9rocsolver6v33100L20shell_sort_ascendingIfiEEvT0_PT_PS2_.gaps@rel32@hi+12
	s_lshl_b64 s[14:15], s[22:23], 2
	s_delay_alu instid0(SALU_CYCLE_1)
	s_add_u32 s4, s14, s4
	s_addc_u32 s5, s15, s5
	s_load_b32 s52, s[4:5], 0x0
	s_waitcnt lgkmcnt(0)
	s_cmp_ge_i32 s52, s48
	s_cbranch_scc1 .LBB33_14
; %bb.16:                               ;   in Loop: Header=BB33_15 Depth=2
	s_mov_b32 s53, 0
	s_mov_b32 s4, s52
	s_branch .LBB33_18
.LBB33_17:                              ;   in Loop: Header=BB33_18 Depth=3
	s_add_i32 s4, s4, 1
	s_add_i32 s53, s53, 1
	s_cmp_ge_i32 s4, s48
	s_cbranch_scc1 .LBB33_14
.LBB33_18:                              ;   Parent Loop BB33_4 Depth=1
                                        ;     Parent Loop BB33_15 Depth=2
                                        ; =>    This Loop Header: Depth=3
                                        ;         Child Loop BB33_22 Depth 4
	s_ashr_i32 s5, s4, 31
	s_delay_alu instid0(SALU_CYCLE_1) | instskip(NEXT) | instid1(SALU_CYCLE_1)
	s_lshl_b64 s[14:15], s[4:5], 2
	s_add_u32 s26, s17, s14
	s_addc_u32 s27, s51, s15
	s_and_not1_b32 vcc_lo, exec_lo, s40
	global_load_b32 v0, v1, s[26:27]
	s_cbranch_vccnz .LBB33_20
; %bb.19:                               ;   in Loop: Header=BB33_18 Depth=3
	s_add_u32 s14, s33, s14
	s_addc_u32 s15, s34, s15
	global_load_b32 v6, v1, s[14:15]
	s_cmp_lt_i32 s4, s52
	s_mov_b64 s[26:27], s[4:5]
	s_mov_b32 s14, s53
	s_cbranch_scc0 .LBB33_22
	s_branch .LBB33_26
.LBB33_20:                              ;   in Loop: Header=BB33_18 Depth=3
	v_mov_b32_e32 v6, 0
	s_cmp_lt_i32 s4, s52
	s_mov_b64 s[26:27], s[4:5]
	s_mov_b32 s14, s53
	s_cbranch_scc0 .LBB33_22
	s_branch .LBB33_26
	.p2align	6
.LBB33_21:                              ;   in Loop: Header=BB33_22 Depth=4
                                        ; implicit-def: $sgpr14
	s_cbranch_execnz .LBB33_26
.LBB33_22:                              ;   Parent Loop BB33_4 Depth=1
                                        ;     Parent Loop BB33_15 Depth=2
                                        ;       Parent Loop BB33_18 Depth=3
                                        ; =>      This Inner Loop Header: Depth=4
	s_ashr_i32 s15, s14, 31
	s_add_i32 s26, s52, s14
	s_lshl_b64 s[28:29], s[14:15], 2
	s_delay_alu instid0(SALU_CYCLE_1)
	s_add_u32 s54, s17, s28
	s_addc_u32 s55, s51, s29
	s_ashr_i32 s27, s26, 31
	global_load_b32 v7, v1, s[54:55]
	s_waitcnt vmcnt(0)
	v_cmp_ngt_f32_e32 vcc_lo, v7, v0
	s_cbranch_vccnz .LBB33_21
; %bb.23:                               ;   in Loop: Header=BB33_22 Depth=4
	s_lshl_b64 s[26:27], s[26:27], 2
	s_delay_alu instid0(SALU_CYCLE_1)
	s_add_u32 s54, s17, s26
	s_addc_u32 s55, s51, s27
	s_and_not1_b32 vcc_lo, exec_lo, s40
	global_store_b32 v1, v7, s[54:55]
	s_cbranch_vccnz .LBB33_25
; %bb.24:                               ;   in Loop: Header=BB33_22 Depth=4
	s_add_u32 s26, s33, s26
	s_addc_u32 s27, s34, s27
	s_add_u32 s28, s33, s28
	s_addc_u32 s29, s34, s29
	global_load_b32 v7, v1, s[28:29]
	s_waitcnt vmcnt(0)
	global_store_b32 v1, v7, s[26:27]
.LBB33_25:                              ;   in Loop: Header=BB33_22 Depth=4
	s_sub_i32 s28, s14, s52
	s_cmp_lt_i32 s14, s52
	s_mov_b64 s[26:27], s[14:15]
	s_cselect_b32 s5, -1, 0
	s_mov_b32 s14, s28
	s_and_b32 vcc_lo, exec_lo, s5
	s_cbranch_vccz .LBB33_22
.LBB33_26:                              ;   in Loop: Header=BB33_18 Depth=3
	s_lshl_b64 s[14:15], s[26:27], 2
	s_delay_alu instid0(SALU_CYCLE_1)
	s_add_u32 s26, s17, s14
	s_addc_u32 s27, s51, s15
	s_and_not1_b32 vcc_lo, exec_lo, s40
	s_waitcnt vmcnt(0)
	global_store_b32 v1, v0, s[26:27]
	s_cbranch_vccnz .LBB33_17
; %bb.27:                               ;   in Loop: Header=BB33_18 Depth=3
	s_add_u32 s14, s33, s14
	s_addc_u32 s15, s34, s15
	global_store_b32 v1, v6, s[14:15]
	s_branch .LBB33_17
.LBB33_28:                              ;   in Loop: Header=BB33_4 Depth=1
	s_or_b32 exec_lo, exec_lo, s3
	s_cmp_lt_i32 s48, 2
	s_waitcnt_vscnt null, 0x0
	s_cselect_b32 s15, -1, 0
	s_barrier
	s_and_b32 vcc_lo, exec_lo, s15
	buffer_gl0_inv
	s_cbranch_vccnz .LBB33_36
; %bb.29:                               ;   in Loop: Header=BB33_4 Depth=1
	s_add_i32 s5, s48, -1
	s_mov_b32 s15, -1
	s_mov_b32 s4, exec_lo
                                        ; implicit-def: $sgpr3
                                        ; implicit-def: $sgpr14
	v_cmpx_gt_u32_e64 s5, v5
	s_cbranch_execz .LBB33_38
; %bb.30:                               ;   in Loop: Header=BB33_4 Depth=1
	v_mov_b32_e32 v0, v5
	s_add_u32 s14, s17, 4
	s_addc_u32 s22, s51, 0
	s_mov_b32 s15, 0
                                        ; implicit-def: $sgpr27
                                        ; implicit-def: $sgpr28
                                        ; implicit-def: $sgpr26
	s_branch .LBB33_32
.LBB33_31:                              ;   in Loop: Header=BB33_32 Depth=2
	s_or_b32 exec_lo, exec_lo, s55
	s_xor_b32 s52, s54, -1
	s_and_b32 s53, exec_lo, s53
	s_delay_alu instid0(SALU_CYCLE_1)
	s_or_b32 s15, s53, s15
	s_and_not1_b32 s26, s26, exec_lo
	s_and_b32 s52, s52, exec_lo
	s_and_not1_b32 s28, s28, exec_lo
	s_and_b32 s29, s29, exec_lo
	;; [unrolled: 2-line block ×3, first 2 shown]
	s_or_b32 s26, s26, s52
	s_or_b32 s28, s28, s29
	;; [unrolled: 1-line block ×3, first 2 shown]
	s_and_not1_b32 exec_lo, exec_lo, s15
	s_cbranch_execz .LBB33_37
.LBB33_32:                              ;   Parent Loop BB33_4 Depth=1
                                        ; =>  This Inner Loop Header: Depth=2
	v_lshlrev_b64 v[5:6], 2, v[0:1]
	s_mov_b32 s53, exec_lo
                                        ; implicit-def: $sgpr29
                                        ; implicit-def: $sgpr3
	s_delay_alu instid0(VALU_DEP_1) | instskip(NEXT) | instid1(VALU_DEP_2)
	v_add_co_u32 v5, vcc_lo, s17, v5
	v_add_co_ci_u32_e32 v6, vcc_lo, s51, v6, vcc_lo
	global_load_b32 v5, v[5:6], off
	s_waitcnt vmcnt(0)
	v_cmp_u_f32_e64 s52, v5, v5
	v_cmpx_o_f32_e32 v5, v5
	s_cbranch_execz .LBB33_34
; %bb.33:                               ;   in Loop: Header=BB33_32 Depth=2
	v_ashrrev_i32_e32 v7, 31, v0
	v_mov_b32_e32 v6, v0
	s_and_not1_b32 s52, s52, exec_lo
	s_delay_alu instid0(VALU_DEP_1) | instskip(NEXT) | instid1(VALU_DEP_1)
	v_lshlrev_b64 v[6:7], 2, v[6:7]
	v_add_co_u32 v6, vcc_lo, s14, v6
	s_delay_alu instid0(VALU_DEP_2) | instskip(SKIP_4) | instid1(VALU_DEP_1)
	v_add_co_ci_u32_e32 v7, vcc_lo, s22, v7, vcc_lo
	global_load_b32 v6, v[6:7], off
	s_waitcnt vmcnt(0)
	v_cmp_u_f32_e32 vcc_lo, v6, v6
	v_cmp_le_f32_e64 s3, v5, v6
	s_or_b32 s29, vcc_lo, s3
	s_mov_b32 s3, 0
	s_and_b32 s54, s29, exec_lo
	s_mov_b32 s29, -1
	s_or_b32 s52, s52, s54
.LBB33_34:                              ;   in Loop: Header=BB33_32 Depth=2
	s_or_b32 exec_lo, exec_lo, s53
	s_mov_b32 s53, -1
	s_mov_b32 s54, s29
	s_and_saveexec_b32 s55, s52
	s_cbranch_execz .LBB33_31
; %bb.35:                               ;   in Loop: Header=BB33_32 Depth=2
	v_add_nc_u32_e32 v0, s50, v0
	s_and_not1_b32 s54, s29, exec_lo
	s_delay_alu instid0(VALU_DEP_1)
	v_cmp_le_u32_e32 vcc_lo, s5, v0
	s_or_not1_b32 s53, vcc_lo, exec_lo
	s_branch .LBB33_31
.LBB33_36:                              ;   in Loop: Header=BB33_4 Depth=1
                                        ; implicit-def: $sgpr3
                                        ; implicit-def: $sgpr14
	s_mov_b32 s4, 0
	s_and_saveexec_b32 s5, s15
	s_cbranch_execnz .LBB33_39
	s_branch .LBB33_40
.LBB33_37:                              ;   in Loop: Header=BB33_4 Depth=1
	s_or_b32 exec_lo, exec_lo, s15
	s_delay_alu instid0(SALU_CYCLE_1)
	s_and_b32 s14, s27, exec_lo
	s_and_b32 s3, s28, exec_lo
	s_or_not1_b32 s15, s26, exec_lo
.LBB33_38:                              ;   in Loop: Header=BB33_4 Depth=1
	s_or_b32 exec_lo, exec_lo, s4
	s_mov_b32 s4, 0
	s_and_saveexec_b32 s5, s15
	s_cbranch_execz .LBB33_40
.LBB33_39:                              ;   in Loop: Header=BB33_4 Depth=1
	s_mov_b32 s4, exec_lo
	s_and_not1_b32 s14, s14, exec_lo
	s_and_not1_b32 s3, s3, exec_lo
	s_barrier
	buffer_gl0_inv
.LBB33_40:                              ;   in Loop: Header=BB33_4 Depth=1
	s_or_b32 exec_lo, exec_lo, s5
.LBB33_41:                              ;   in Loop: Header=BB33_4 Depth=1
	s_delay_alu instid0(SALU_CYCLE_1)
	s_and_not1_b32 s5, s47, exec_lo
	s_and_b32 s14, s14, exec_lo
	s_and_not1_b32 s15, s46, exec_lo
	s_and_b32 s3, s3, exec_lo
	s_or_b32 s47, s5, s14
	s_or_b32 s46, s15, s3
	s_and_saveexec_b32 s5, s4
	s_cbranch_execz .LBB33_3
; %bb.42:                               ;   in Loop: Header=BB33_4 Depth=1
	s_cmp_lg_u64 s[12:13], 0
	s_mov_b32 s17, -1
	s_cselect_b32 s3, -1, 0
	s_mov_b32 s4, -1
	s_and_b32 s3, s19, s3
	s_delay_alu instid0(SALU_CYCLE_1)
	s_and_b32 s3, s42, s3
	s_barrier
	s_and_b32 s3, s40, s3
	buffer_gl0_inv
	s_and_b32 vcc_lo, exec_lo, s3
                                        ; implicit-def: $sgpr14
                                        ; implicit-def: $sgpr3
	s_cbranch_vccz .LBB33_63
; %bb.43:                               ;   in Loop: Header=BB33_4 Depth=1
	s_load_b64 s[14:15], s[24:25], 0xc
	s_waitcnt lgkmcnt(0)
	s_lshr_b32 s3, s14, 16
	s_and_b32 s4, s14, 0xffff
	s_delay_alu instid0(SALU_CYCLE_1)
	s_mul_i32 s49, s3, s4
	v_mul_u32_u24_e32 v5, s4, v3
	v_mul_lo_u32 v0, s49, v4
	s_and_b32 s3, s15, 0xffff
	s_cmp_lt_i32 s48, 0
	s_mul_i32 s49, s49, s3
	s_cselect_b32 s48, s18, s48
	s_delay_alu instid0(SALU_CYCLE_1) | instskip(NEXT) | instid1(VALU_DEP_1)
	s_cmp_eq_u32 s48, 0
	v_add3_u32 v5, v5, v2, v0
	s_cbranch_scc1 .LBB33_54
; %bb.44:                               ;   in Loop: Header=BB33_4 Depth=1
	s_delay_alu instid0(VALU_DEP_1)
	v_cmp_eq_u32_e64 s3, 0, v5
	v_cmp_gt_u32_e64 s4, s18, v5
	s_mov_b32 s22, 0
	s_branch .LBB33_46
.LBB33_45:                              ;   in Loop: Header=BB33_46 Depth=2
	s_add_i32 s22, s22, 1
	s_delay_alu instid0(SALU_CYCLE_1)
	s_cmp_eq_u32 s22, s48
	s_cbranch_scc1 .LBB33_54
.LBB33_46:                              ;   Parent Loop BB33_4 Depth=1
                                        ; =>  This Loop Header: Depth=2
                                        ;       Child Loop BB33_48 Depth 3
                                        ;         Child Loop BB33_53 Depth 4
	s_lshl_b64 s[14:15], s[22:23], 2
	s_delay_alu instid0(SALU_CYCLE_1)
	s_add_u32 s14, s33, s14
	s_addc_u32 s15, s34, s15
	s_barrier
	s_branch .LBB33_48
.LBB33_47:                              ;   in Loop: Header=BB33_48 Depth=3
	s_or_b32 exec_lo, exec_lo, s28
	s_waitcnt lgkmcnt(0)
	s_waitcnt_vscnt null, 0x0
	s_barrier
.LBB33_48:                              ;   Parent Loop BB33_4 Depth=1
                                        ;     Parent Loop BB33_46 Depth=2
                                        ; =>    This Loop Header: Depth=3
                                        ;         Child Loop BB33_53 Depth 4
	buffer_gl0_inv
	global_load_b32 v0, v1, s[14:15]
	s_waitcnt vmcnt(0)
	v_cmp_eq_u32_e32 vcc_lo, s22, v0
	v_readfirstlane_b32 s26, v0
	s_cbranch_vccnz .LBB33_45
; %bb.49:                               ;   in Loop: Header=BB33_48 Depth=3
	s_delay_alu instid0(VALU_DEP_1) | instskip(NEXT) | instid1(SALU_CYCLE_1)
	s_ashr_i32 s27, s26, 31
	s_lshl_b64 s[28:29], s[26:27], 2
	s_delay_alu instid0(SALU_CYCLE_1)
	s_add_u32 s28, s33, s28
	s_addc_u32 s29, s34, s29
	global_load_b32 v0, v1, s[28:29]
	s_waitcnt vmcnt(0)
	s_barrier
	buffer_gl0_inv
	v_readfirstlane_b32 s50, v0
	s_and_saveexec_b32 s51, s3
; %bb.50:                               ;   in Loop: Header=BB33_48 Depth=3
	v_mov_b32_e32 v0, s26
	s_delay_alu instid0(VALU_DEP_2)
	v_mov_b32_e32 v6, s50
	s_clause 0x1
	global_store_b32 v1, v0, s[28:29]
	global_store_b32 v1, v6, s[14:15]
; %bb.51:                               ;   in Loop: Header=BB33_48 Depth=3
	s_or_b32 exec_lo, exec_lo, s51
	s_waitcnt_vscnt null, 0x0
	s_barrier
	buffer_gl0_inv
	s_and_saveexec_b32 s28, s4
	s_cbranch_execz .LBB33_47
; %bb.52:                               ;   in Loop: Header=BB33_48 Depth=3
	s_mul_i32 s27, s27, s43
	s_mul_hi_u32 s29, s26, s43
	s_mul_i32 s26, s26, s43
	s_add_i32 s27, s29, s27
	s_ashr_i32 s29, s50, 31
	s_mul_hi_u32 s51, s50, s43
	s_mul_i32 s29, s29, s43
	s_lshl_b64 s[26:27], s[26:27], 3
	s_add_i32 s51, s51, s29
	s_mul_i32 s50, s50, s43
	s_add_u32 s26, s12, s26
	s_addc_u32 s27, s13, s27
	s_lshl_b64 s[50:51], s[50:51], 3
	v_mov_b32_e32 v0, v5
	s_add_u32 s29, s12, s50
	s_addc_u32 s50, s13, s51
	s_mov_b32 s51, 0
	.p2align	6
.LBB33_53:                              ;   Parent Loop BB33_4 Depth=1
                                        ;     Parent Loop BB33_46 Depth=2
                                        ;       Parent Loop BB33_48 Depth=3
                                        ; =>      This Inner Loop Header: Depth=4
	s_delay_alu instid0(VALU_DEP_1) | instskip(SKIP_1) | instid1(VALU_DEP_2)
	v_lshlrev_b64 v[6:7], 3, v[0:1]
	v_add_nc_u32_e32 v0, s49, v0
	v_add_co_u32 v8, vcc_lo, s29, v6
	s_delay_alu instid0(VALU_DEP_3)
	v_add_co_ci_u32_e32 v9, vcc_lo, s50, v7, vcc_lo
	v_add_co_u32 v6, vcc_lo, s26, v6
	v_add_co_ci_u32_e32 v7, vcc_lo, s27, v7, vcc_lo
	v_cmp_le_u32_e32 vcc_lo, s18, v0
	s_clause 0x1
	flat_load_b64 v[10:11], v[8:9]
	flat_load_b64 v[12:13], v[6:7]
	s_waitcnt vmcnt(1) lgkmcnt(1)
	flat_store_b64 v[6:7], v[10:11]
	s_waitcnt vmcnt(0) lgkmcnt(1)
	flat_store_b64 v[8:9], v[12:13]
	s_or_b32 s51, vcc_lo, s51
	s_delay_alu instid0(SALU_CYCLE_1)
	s_and_not1_b32 exec_lo, exec_lo, s51
	s_cbranch_execnz .LBB33_53
	s_branch .LBB33_47
.LBB33_54:                              ;   in Loop: Header=BB33_4 Depth=1
	s_mov_b32 s12, -1
	s_mov_b32 s4, exec_lo
	s_barrier
	buffer_gl0_inv
                                        ; implicit-def: $sgpr14
                                        ; implicit-def: $sgpr3
	v_cmpx_gt_u32_e64 s48, v5
	s_cbranch_execz .LBB33_60
; %bb.55:                               ;   in Loop: Header=BB33_4 Depth=1
	v_mov_b32_e32 v0, v5
	s_mov_b32 s3, 0
                                        ; implicit-def: $sgpr12
                                        ; implicit-def: $sgpr14
                                        ; implicit-def: $sgpr13
	s_set_inst_prefetch_distance 0x1
	s_branch .LBB33_57
	.p2align	6
.LBB33_56:                              ;   in Loop: Header=BB33_57 Depth=2
	s_or_b32 exec_lo, exec_lo, s15
	s_xor_b32 s15, s13, -1
	s_and_b32 s22, exec_lo, s14
	s_delay_alu instid0(SALU_CYCLE_1) | instskip(SKIP_2) | instid1(SALU_CYCLE_1)
	s_or_b32 s3, s22, s3
	s_and_not1_b32 s12, s12, exec_lo
	s_and_b32 s15, s15, exec_lo
	s_or_b32 s12, s12, s15
	s_and_not1_b32 exec_lo, exec_lo, s3
	s_cbranch_execz .LBB33_59
.LBB33_57:                              ;   Parent Loop BB33_4 Depth=1
                                        ; =>  This Inner Loop Header: Depth=2
	s_delay_alu instid0(VALU_DEP_1) | instskip(SKIP_3) | instid1(VALU_DEP_1)
	v_lshlrev_b64 v[5:6], 2, v[0:1]
	s_or_b32 s13, s13, exec_lo
	s_or_b32 s14, s14, exec_lo
	s_mov_b32 s15, exec_lo
	v_add_co_u32 v5, vcc_lo, s33, v5
	s_delay_alu instid0(VALU_DEP_2)
	v_add_co_ci_u32_e32 v6, vcc_lo, s34, v6, vcc_lo
	global_load_b32 v5, v[5:6], off
	s_waitcnt vmcnt(0)
	v_cmpx_eq_u32_e64 v0, v5
	s_cbranch_execz .LBB33_56
; %bb.58:                               ;   in Loop: Header=BB33_57 Depth=2
	v_add_nc_u32_e32 v0, s49, v0
	s_and_not1_b32 s14, s14, exec_lo
	s_and_not1_b32 s13, s13, exec_lo
	s_delay_alu instid0(VALU_DEP_1) | instskip(SKIP_1) | instid1(SALU_CYCLE_1)
	v_cmp_le_u32_e32 vcc_lo, s48, v0
	s_and_b32 s22, vcc_lo, exec_lo
	s_or_b32 s14, s14, s22
	s_branch .LBB33_56
.LBB33_59:                              ;   in Loop: Header=BB33_4 Depth=1
	s_set_inst_prefetch_distance 0x2
	s_or_b32 exec_lo, exec_lo, s3
	s_mov_b32 s3, 0
	s_mov_b32 s14, -1
	s_or_not1_b32 s12, s12, exec_lo
.LBB33_60:                              ;   in Loop: Header=BB33_4 Depth=1
	s_or_b32 exec_lo, exec_lo, s4
	s_mov_b32 s4, 0
	s_and_saveexec_b32 s13, s12
	s_cbranch_execz .LBB33_62
; %bb.61:                               ;   in Loop: Header=BB33_4 Depth=1
	s_mov_b32 s4, exec_lo
	s_barrier
	buffer_gl0_inv
                                        ; implicit-def: $sgpr14
                                        ; implicit-def: $sgpr3
.LBB33_62:                              ;   in Loop: Header=BB33_4 Depth=1
	s_or_b32 exec_lo, exec_lo, s13
.LBB33_63:                              ;   in Loop: Header=BB33_4 Depth=1
	s_and_saveexec_b32 s12, s4
	s_cbranch_execz .LBB33_2
; %bb.64:                               ;   in Loop: Header=BB33_4 Depth=1
	s_add_i32 s16, s16, s31
	s_delay_alu instid0(SALU_CYCLE_1)
	s_cmp_ge_i32 s16, s30
	s_barrier
	s_cselect_b32 s4, -1, 0
	s_and_not1_b32 s14, s14, exec_lo
	s_and_not1_b32 s3, s3, exec_lo
	s_or_not1_b32 s17, s4, exec_lo
	buffer_gl0_inv
	s_branch .LBB33_2
.LBB33_65:
	s_or_b32 exec_lo, exec_lo, s44
	s_xor_b32 s2, s45, -1
	s_mov_b32 s21, 0
	s_and_saveexec_b32 s3, s2
	s_delay_alu instid0(SALU_CYCLE_1)
	s_xor_b32 s24, exec_lo, s3
	s_cbranch_execnz .LBB33_70
; %bb.66:
	s_and_not1_saveexec_b32 s22, s24
	s_cbranch_execnz .LBB33_73
.LBB33_67:
	s_or_b32 exec_lo, exec_lo, s22
	s_and_saveexec_b32 s0, s21
.LBB33_68:
	; divergent unreachable
.LBB33_69:
	s_endpgm
.LBB33_70:
	s_mov_b32 s2, 0
	s_and_saveexec_b32 s3, s41
	s_delay_alu instid0(SALU_CYCLE_1)
	s_xor_b32 s21, exec_lo, s3
	s_cbranch_execz .LBB33_72
; %bb.71:
	s_add_u32 s8, s0, 0x48
	s_addc_u32 s9, s1, 0
	s_getpc_b64 s[2:3]
	s_add_u32 s2, s2, .str.6@rel32@lo+4
	s_addc_u32 s3, s3, .str.6@rel32@hi+12
	s_getpc_b64 s[4:5]
	s_add_u32 s4, s4, __PRETTY_FUNCTION__._ZN9rocsolver6v33100L12permute_swapI19rocblas_complex_numIfEiEEvT0_PT_S4_PS4_S4_@rel32@lo+4
	s_addc_u32 s5, s5, __PRETTY_FUNCTION__._ZN9rocsolver6v33100L12permute_swapI19rocblas_complex_numIfEiEEvT0_PT_S4_PS4_S4_@rel32@hi+12
	v_dual_mov_b32 v0, s2 :: v_dual_mov_b32 v1, s3
	v_dual_mov_b32 v2, 0x25b :: v_dual_mov_b32 v3, s4
	v_mov_b32_e32 v4, s5
	s_getpc_b64 s[6:7]
	s_add_u32 s6, s6, __assert_fail@rel32@lo+4
	s_addc_u32 s7, s7, __assert_fail@rel32@hi+12
	s_mov_b64 s[22:23], s[0:1]
	s_swappc_b64 s[30:31], s[6:7]
	s_mov_b64 s[0:1], s[22:23]
	s_mov_b32 s2, exec_lo
.LBB33_72:
	s_or_b32 exec_lo, exec_lo, s21
	s_delay_alu instid0(SALU_CYCLE_1)
	s_and_b32 s21, s2, exec_lo
	s_and_not1_saveexec_b32 s22, s24
	s_cbranch_execz .LBB33_67
.LBB33_73:
	s_add_u32 s8, s0, 0x48
	s_addc_u32 s9, s1, 0
	s_getpc_b64 s[0:1]
	s_add_u32 s0, s0, .str.3@rel32@lo+4
	s_addc_u32 s1, s1, .str.3@rel32@hi+12
	s_getpc_b64 s[2:3]
	s_add_u32 s2, s2, __PRETTY_FUNCTION__._ZN9rocsolver6v33100L20shell_sort_ascendingIfiEEvT0_PT_PS2_@rel32@lo+4
	s_addc_u32 s3, s3, __PRETTY_FUNCTION__._ZN9rocsolver6v33100L20shell_sort_ascendingIfiEEvT0_PT_PS2_@rel32@hi+12
	v_dual_mov_b32 v0, s0 :: v_dual_mov_b32 v1, s1
	v_dual_mov_b32 v2, 0xea :: v_dual_mov_b32 v3, s2
	v_mov_b32_e32 v4, s3
	s_getpc_b64 s[4:5]
	s_add_u32 s4, s4, __assert_fail@rel32@lo+4
	s_addc_u32 s5, s5, __assert_fail@rel32@hi+12
	s_delay_alu instid0(SALU_CYCLE_1)
	s_swappc_b64 s[30:31], s[4:5]
	s_or_b32 s21, s21, exec_lo
	s_or_b32 exec_lo, exec_lo, s22
	s_and_saveexec_b32 s0, s21
	s_cbranch_execnz .LBB33_68
	s_branch .LBB33_69
	.section	.rodata,"a",@progbits
	.p2align	6, 0x0
	.amdhsa_kernel _ZN9rocsolver6v33100L11stedcx_sortI19rocblas_complex_numIfEfPS3_EEviPT0_lT1_iiliPiS8_
		.amdhsa_group_segment_fixed_size 0
		.amdhsa_private_segment_fixed_size 64
		.amdhsa_kernarg_size 328
		.amdhsa_user_sgpr_count 14
		.amdhsa_user_sgpr_dispatch_ptr 0
		.amdhsa_user_sgpr_queue_ptr 0
		.amdhsa_user_sgpr_kernarg_segment_ptr 1
		.amdhsa_user_sgpr_dispatch_id 0
		.amdhsa_user_sgpr_private_segment_size 0
		.amdhsa_wavefront_size32 1
		.amdhsa_uses_dynamic_stack 0
		.amdhsa_enable_private_segment 1
		.amdhsa_system_sgpr_workgroup_id_x 1
		.amdhsa_system_sgpr_workgroup_id_y 0
		.amdhsa_system_sgpr_workgroup_id_z 1
		.amdhsa_system_sgpr_workgroup_info 0
		.amdhsa_system_vgpr_workitem_id 2
		.amdhsa_next_free_vgpr 51
		.amdhsa_next_free_sgpr 56
		.amdhsa_reserve_vcc 1
		.amdhsa_float_round_mode_32 0
		.amdhsa_float_round_mode_16_64 0
		.amdhsa_float_denorm_mode_32 3
		.amdhsa_float_denorm_mode_16_64 3
		.amdhsa_dx10_clamp 1
		.amdhsa_ieee_mode 1
		.amdhsa_fp16_overflow 0
		.amdhsa_workgroup_processor_mode 1
		.amdhsa_memory_ordered 1
		.amdhsa_forward_progress 0
		.amdhsa_shared_vgpr_count 0
		.amdhsa_exception_fp_ieee_invalid_op 0
		.amdhsa_exception_fp_denorm_src 0
		.amdhsa_exception_fp_ieee_div_zero 0
		.amdhsa_exception_fp_ieee_overflow 0
		.amdhsa_exception_fp_ieee_underflow 0
		.amdhsa_exception_fp_ieee_inexact 0
		.amdhsa_exception_int_div_zero 0
	.end_amdhsa_kernel
	.section	.text._ZN9rocsolver6v33100L11stedcx_sortI19rocblas_complex_numIfEfPS3_EEviPT0_lT1_iiliPiS8_,"axG",@progbits,_ZN9rocsolver6v33100L11stedcx_sortI19rocblas_complex_numIfEfPS3_EEviPT0_lT1_iiliPiS8_,comdat
.Lfunc_end33:
	.size	_ZN9rocsolver6v33100L11stedcx_sortI19rocblas_complex_numIfEfPS3_EEviPT0_lT1_iiliPiS8_, .Lfunc_end33-_ZN9rocsolver6v33100L11stedcx_sortI19rocblas_complex_numIfEfPS3_EEviPT0_lT1_iiliPiS8_
                                        ; -- End function
	.section	.AMDGPU.csdata,"",@progbits
; Kernel info:
; codeLenInByte = 2720
; NumSgprs: 58
; NumVgprs: 51
; ScratchSize: 64
; MemoryBound: 0
; FloatMode: 240
; IeeeMode: 1
; LDSByteSize: 0 bytes/workgroup (compile time only)
; SGPRBlocks: 7
; VGPRBlocks: 6
; NumSGPRsForWavesPerEU: 58
; NumVGPRsForWavesPerEU: 51
; Occupancy: 16
; WaveLimiterHint : 1
; COMPUTE_PGM_RSRC2:SCRATCH_EN: 1
; COMPUTE_PGM_RSRC2:USER_SGPR: 14
; COMPUTE_PGM_RSRC2:TRAP_HANDLER: 0
; COMPUTE_PGM_RSRC2:TGID_X_EN: 1
; COMPUTE_PGM_RSRC2:TGID_Y_EN: 0
; COMPUTE_PGM_RSRC2:TGID_Z_EN: 1
; COMPUTE_PGM_RSRC2:TIDIG_COMP_CNT: 2
	.section	.text._ZN9rocsolver6v33100L16reset_batch_infoI19rocblas_complex_numIdEiiPS3_EEvT2_lT0_T1_,"axG",@progbits,_ZN9rocsolver6v33100L16reset_batch_infoI19rocblas_complex_numIdEiiPS3_EEvT2_lT0_T1_,comdat
	.globl	_ZN9rocsolver6v33100L16reset_batch_infoI19rocblas_complex_numIdEiiPS3_EEvT2_lT0_T1_ ; -- Begin function _ZN9rocsolver6v33100L16reset_batch_infoI19rocblas_complex_numIdEiiPS3_EEvT2_lT0_T1_
	.p2align	8
	.type	_ZN9rocsolver6v33100L16reset_batch_infoI19rocblas_complex_numIdEiiPS3_EEvT2_lT0_T1_,@function
_ZN9rocsolver6v33100L16reset_batch_infoI19rocblas_complex_numIdEiiPS3_EEvT2_lT0_T1_: ; @_ZN9rocsolver6v33100L16reset_batch_infoI19rocblas_complex_numIdEiiPS3_EEvT2_lT0_T1_
; %bb.0:
	s_clause 0x1
	s_load_b32 s4, s[0:1], 0x24
	s_load_b64 s[2:3], s[0:1], 0x10
	s_waitcnt lgkmcnt(0)
	s_and_b32 s4, s4, 0xffff
	s_delay_alu instid0(SALU_CYCLE_1) | instskip(NEXT) | instid1(VALU_DEP_1)
	v_mad_u64_u32 v[1:2], null, s14, s4, v[0:1]
	v_cmp_gt_i32_e32 vcc_lo, s2, v1
	s_and_saveexec_b32 s2, vcc_lo
	s_cbranch_execz .LBB34_2
; %bb.1:
	v_cvt_f64_i32_e32 v[3:4], s3
	s_load_b128 s[4:7], s[0:1], 0x0
	v_ashrrev_i32_e32 v2, 31, v1
	s_ashr_i32 s0, s15, 31
	v_mov_b32_e32 v5, 0
	s_delay_alu instid0(VALU_DEP_2) | instskip(NEXT) | instid1(VALU_DEP_2)
	v_lshlrev_b64 v[0:1], 4, v[1:2]
	v_mov_b32_e32 v6, v5
	s_waitcnt lgkmcnt(0)
	s_mul_i32 s1, s15, s7
	s_mul_hi_u32 s2, s15, s6
	s_mul_i32 s3, s0, s6
	s_add_i32 s1, s2, s1
	s_mul_i32 s0, s15, s6
	s_add_i32 s1, s1, s3
	s_delay_alu instid0(SALU_CYCLE_1) | instskip(NEXT) | instid1(SALU_CYCLE_1)
	s_lshl_b64 s[0:1], s[0:1], 4
	s_add_u32 s0, s4, s0
	s_addc_u32 s1, s5, s1
	v_add_co_u32 v0, vcc_lo, s0, v0
	v_add_co_ci_u32_e32 v1, vcc_lo, s1, v1, vcc_lo
	global_store_b128 v[0:1], v[3:6], off
.LBB34_2:
	s_nop 0
	s_sendmsg sendmsg(MSG_DEALLOC_VGPRS)
	s_endpgm
	.section	.rodata,"a",@progbits
	.p2align	6, 0x0
	.amdhsa_kernel _ZN9rocsolver6v33100L16reset_batch_infoI19rocblas_complex_numIdEiiPS3_EEvT2_lT0_T1_
		.amdhsa_group_segment_fixed_size 0
		.amdhsa_private_segment_fixed_size 0
		.amdhsa_kernarg_size 280
		.amdhsa_user_sgpr_count 14
		.amdhsa_user_sgpr_dispatch_ptr 0
		.amdhsa_user_sgpr_queue_ptr 0
		.amdhsa_user_sgpr_kernarg_segment_ptr 1
		.amdhsa_user_sgpr_dispatch_id 0
		.amdhsa_user_sgpr_private_segment_size 0
		.amdhsa_wavefront_size32 1
		.amdhsa_uses_dynamic_stack 0
		.amdhsa_enable_private_segment 0
		.amdhsa_system_sgpr_workgroup_id_x 1
		.amdhsa_system_sgpr_workgroup_id_y 1
		.amdhsa_system_sgpr_workgroup_id_z 0
		.amdhsa_system_sgpr_workgroup_info 0
		.amdhsa_system_vgpr_workitem_id 0
		.amdhsa_next_free_vgpr 7
		.amdhsa_next_free_sgpr 16
		.amdhsa_reserve_vcc 1
		.amdhsa_float_round_mode_32 0
		.amdhsa_float_round_mode_16_64 0
		.amdhsa_float_denorm_mode_32 3
		.amdhsa_float_denorm_mode_16_64 3
		.amdhsa_dx10_clamp 1
		.amdhsa_ieee_mode 1
		.amdhsa_fp16_overflow 0
		.amdhsa_workgroup_processor_mode 1
		.amdhsa_memory_ordered 1
		.amdhsa_forward_progress 0
		.amdhsa_shared_vgpr_count 0
		.amdhsa_exception_fp_ieee_invalid_op 0
		.amdhsa_exception_fp_denorm_src 0
		.amdhsa_exception_fp_ieee_div_zero 0
		.amdhsa_exception_fp_ieee_overflow 0
		.amdhsa_exception_fp_ieee_underflow 0
		.amdhsa_exception_fp_ieee_inexact 0
		.amdhsa_exception_int_div_zero 0
	.end_amdhsa_kernel
	.section	.text._ZN9rocsolver6v33100L16reset_batch_infoI19rocblas_complex_numIdEiiPS3_EEvT2_lT0_T1_,"axG",@progbits,_ZN9rocsolver6v33100L16reset_batch_infoI19rocblas_complex_numIdEiiPS3_EEvT2_lT0_T1_,comdat
.Lfunc_end34:
	.size	_ZN9rocsolver6v33100L16reset_batch_infoI19rocblas_complex_numIdEiiPS3_EEvT2_lT0_T1_, .Lfunc_end34-_ZN9rocsolver6v33100L16reset_batch_infoI19rocblas_complex_numIdEiiPS3_EEvT2_lT0_T1_
                                        ; -- End function
	.section	.AMDGPU.csdata,"",@progbits
; Kernel info:
; codeLenInByte = 172
; NumSgprs: 18
; NumVgprs: 7
; ScratchSize: 0
; MemoryBound: 0
; FloatMode: 240
; IeeeMode: 1
; LDSByteSize: 0 bytes/workgroup (compile time only)
; SGPRBlocks: 2
; VGPRBlocks: 0
; NumSGPRsForWavesPerEU: 18
; NumVGPRsForWavesPerEU: 7
; Occupancy: 16
; WaveLimiterHint : 0
; COMPUTE_PGM_RSRC2:SCRATCH_EN: 0
; COMPUTE_PGM_RSRC2:USER_SGPR: 14
; COMPUTE_PGM_RSRC2:TRAP_HANDLER: 0
; COMPUTE_PGM_RSRC2:TGID_X_EN: 1
; COMPUTE_PGM_RSRC2:TGID_Y_EN: 1
; COMPUTE_PGM_RSRC2:TGID_Z_EN: 0
; COMPUTE_PGM_RSRC2:TIDIG_COMP_CNT: 0
	.section	.text._ZN9rocsolver6v33100L10init_identI19rocblas_complex_numIdEPS3_EEviiT0_iil,"axG",@progbits,_ZN9rocsolver6v33100L10init_identI19rocblas_complex_numIdEPS3_EEviiT0_iil,comdat
	.globl	_ZN9rocsolver6v33100L10init_identI19rocblas_complex_numIdEPS3_EEviiT0_iil ; -- Begin function _ZN9rocsolver6v33100L10init_identI19rocblas_complex_numIdEPS3_EEviiT0_iil
	.p2align	8
	.type	_ZN9rocsolver6v33100L10init_identI19rocblas_complex_numIdEPS3_EEviiT0_iil,@function
_ZN9rocsolver6v33100L10init_identI19rocblas_complex_numIdEPS3_EEviiT0_iil: ; @_ZN9rocsolver6v33100L10init_identI19rocblas_complex_numIdEPS3_EEviiT0_iil
; %bb.0:
	s_clause 0x1
	s_load_b32 s4, s[0:1], 0x2c
	s_load_b64 s[2:3], s[0:1], 0x0
	v_and_b32_e32 v1, 0x3ff, v0
	v_bfe_u32 v2, v0, 10, 10
	s_waitcnt lgkmcnt(0)
	s_lshr_b32 s5, s4, 16
	s_and_b32 s4, s4, 0xffff
	s_delay_alu instid0(VALU_DEP_1) | instid1(SALU_CYCLE_1)
	v_mad_u64_u32 v[4:5], null, s13, s4, v[1:2]
	v_mad_u64_u32 v[0:1], null, s14, s5, v[2:3]
	s_delay_alu instid0(VALU_DEP_2) | instskip(NEXT) | instid1(VALU_DEP_2)
	v_cmp_gt_u32_e32 vcc_lo, s2, v4
	v_cmp_gt_u32_e64 s2, s3, v0
	s_delay_alu instid0(VALU_DEP_1) | instskip(NEXT) | instid1(SALU_CYCLE_1)
	s_and_b32 s2, vcc_lo, s2
	s_and_saveexec_b32 s3, s2
	s_cbranch_execz .LBB35_6
; %bb.1:
	s_load_b64 s[2:3], s[0:1], 0x10
	s_mov_b32 s6, exec_lo
                                        ; implicit-def: $sgpr4_sgpr5
                                        ; implicit-def: $vgpr2
	v_cmpx_ne_u32_e64 v4, v0
	s_xor_b32 s6, exec_lo, s6
	s_cbranch_execz .LBB35_3
; %bb.2:
	s_waitcnt lgkmcnt(0)
	v_mad_u64_u32 v[2:3], null, v0, s3, v[4:5]
	s_mov_b64 s[4:5], 0
                                        ; implicit-def: $vgpr4_vgpr5
.LBB35_3:
	s_or_saveexec_b32 s6, s6
	v_dual_mov_b32 v0, s4 :: v_dual_mov_b32 v1, s5
	s_xor_b32 exec_lo, exec_lo, s6
	s_cbranch_execz .LBB35_5
; %bb.4:
	s_waitcnt lgkmcnt(0)
	v_mad_u64_u32 v[2:3], null, v4, s3, v[4:5]
	v_mov_b32_e32 v0, 0
	v_mov_b32_e32 v1, 0x3ff00000
.LBB35_5:
	s_or_b32 exec_lo, exec_lo, s6
	s_clause 0x1
	s_load_b64 s[4:5], s[0:1], 0x18
	s_load_b64 s[0:1], s[0:1], 0x8
	v_mov_b32_e32 v3, 0
	s_delay_alu instid0(VALU_DEP_1)
	v_lshlrev_b64 v[4:5], 4, v[2:3]
	v_mov_b32_e32 v2, v3
	s_waitcnt lgkmcnt(0)
	s_mul_i32 s3, s15, s5
	s_mul_hi_u32 s5, s15, s4
	s_mul_i32 s4, s15, s4
	s_add_i32 s5, s5, s3
	s_ashr_i32 s3, s2, 31
	s_lshl_b64 s[4:5], s[4:5], 4
	s_delay_alu instid0(SALU_CYCLE_1) | instskip(SKIP_2) | instid1(SALU_CYCLE_1)
	s_add_u32 s4, s0, s4
	s_addc_u32 s5, s1, s5
	s_lshl_b64 s[0:1], s[2:3], 4
	s_add_u32 s0, s4, s0
	s_addc_u32 s1, s5, s1
	v_add_co_u32 v4, vcc_lo, s0, v4
	v_add_co_ci_u32_e32 v5, vcc_lo, s1, v5, vcc_lo
	global_store_b128 v[4:5], v[0:3], off
.LBB35_6:
	s_nop 0
	s_sendmsg sendmsg(MSG_DEALLOC_VGPRS)
	s_endpgm
	.section	.rodata,"a",@progbits
	.p2align	6, 0x0
	.amdhsa_kernel _ZN9rocsolver6v33100L10init_identI19rocblas_complex_numIdEPS3_EEviiT0_iil
		.amdhsa_group_segment_fixed_size 0
		.amdhsa_private_segment_fixed_size 0
		.amdhsa_kernarg_size 288
		.amdhsa_user_sgpr_count 13
		.amdhsa_user_sgpr_dispatch_ptr 0
		.amdhsa_user_sgpr_queue_ptr 0
		.amdhsa_user_sgpr_kernarg_segment_ptr 1
		.amdhsa_user_sgpr_dispatch_id 0
		.amdhsa_user_sgpr_private_segment_size 0
		.amdhsa_wavefront_size32 1
		.amdhsa_uses_dynamic_stack 0
		.amdhsa_enable_private_segment 0
		.amdhsa_system_sgpr_workgroup_id_x 1
		.amdhsa_system_sgpr_workgroup_id_y 1
		.amdhsa_system_sgpr_workgroup_id_z 1
		.amdhsa_system_sgpr_workgroup_info 0
		.amdhsa_system_vgpr_workitem_id 1
		.amdhsa_next_free_vgpr 6
		.amdhsa_next_free_sgpr 16
		.amdhsa_reserve_vcc 1
		.amdhsa_float_round_mode_32 0
		.amdhsa_float_round_mode_16_64 0
		.amdhsa_float_denorm_mode_32 3
		.amdhsa_float_denorm_mode_16_64 3
		.amdhsa_dx10_clamp 1
		.amdhsa_ieee_mode 1
		.amdhsa_fp16_overflow 0
		.amdhsa_workgroup_processor_mode 1
		.amdhsa_memory_ordered 1
		.amdhsa_forward_progress 0
		.amdhsa_shared_vgpr_count 0
		.amdhsa_exception_fp_ieee_invalid_op 0
		.amdhsa_exception_fp_denorm_src 0
		.amdhsa_exception_fp_ieee_div_zero 0
		.amdhsa_exception_fp_ieee_overflow 0
		.amdhsa_exception_fp_ieee_underflow 0
		.amdhsa_exception_fp_ieee_inexact 0
		.amdhsa_exception_int_div_zero 0
	.end_amdhsa_kernel
	.section	.text._ZN9rocsolver6v33100L10init_identI19rocblas_complex_numIdEPS3_EEviiT0_iil,"axG",@progbits,_ZN9rocsolver6v33100L10init_identI19rocblas_complex_numIdEPS3_EEviiT0_iil,comdat
.Lfunc_end35:
	.size	_ZN9rocsolver6v33100L10init_identI19rocblas_complex_numIdEPS3_EEviiT0_iil, .Lfunc_end35-_ZN9rocsolver6v33100L10init_identI19rocblas_complex_numIdEPS3_EEviiT0_iil
                                        ; -- End function
	.section	.AMDGPU.csdata,"",@progbits
; Kernel info:
; codeLenInByte = 320
; NumSgprs: 18
; NumVgprs: 6
; ScratchSize: 0
; MemoryBound: 0
; FloatMode: 240
; IeeeMode: 1
; LDSByteSize: 0 bytes/workgroup (compile time only)
; SGPRBlocks: 2
; VGPRBlocks: 0
; NumSGPRsForWavesPerEU: 18
; NumVGPRsForWavesPerEU: 6
; Occupancy: 16
; WaveLimiterHint : 0
; COMPUTE_PGM_RSRC2:SCRATCH_EN: 0
; COMPUTE_PGM_RSRC2:USER_SGPR: 13
; COMPUTE_PGM_RSRC2:TRAP_HANDLER: 0
; COMPUTE_PGM_RSRC2:TGID_X_EN: 1
; COMPUTE_PGM_RSRC2:TGID_Y_EN: 1
; COMPUTE_PGM_RSRC2:TGID_Z_EN: 1
; COMPUTE_PGM_RSRC2:TIDIG_COMP_CNT: 1
	.section	.text._ZN9rocsolver6v33100L8copy_matI19rocblas_complex_numIdEdLb1EPS3_TnNSt9enable_ifIX18rocblas_is_complexIT_EEiE4typeELi0EEEvNS0_17copymat_directionEiiT2_iilPT0_13rocblas_fill_17rocblas_diagonal_,"axG",@progbits,_ZN9rocsolver6v33100L8copy_matI19rocblas_complex_numIdEdLb1EPS3_TnNSt9enable_ifIX18rocblas_is_complexIT_EEiE4typeELi0EEEvNS0_17copymat_directionEiiT2_iilPT0_13rocblas_fill_17rocblas_diagonal_,comdat
	.globl	_ZN9rocsolver6v33100L8copy_matI19rocblas_complex_numIdEdLb1EPS3_TnNSt9enable_ifIX18rocblas_is_complexIT_EEiE4typeELi0EEEvNS0_17copymat_directionEiiT2_iilPT0_13rocblas_fill_17rocblas_diagonal_ ; -- Begin function _ZN9rocsolver6v33100L8copy_matI19rocblas_complex_numIdEdLb1EPS3_TnNSt9enable_ifIX18rocblas_is_complexIT_EEiE4typeELi0EEEvNS0_17copymat_directionEiiT2_iilPT0_13rocblas_fill_17rocblas_diagonal_
	.p2align	8
	.type	_ZN9rocsolver6v33100L8copy_matI19rocblas_complex_numIdEdLb1EPS3_TnNSt9enable_ifIX18rocblas_is_complexIT_EEiE4typeELi0EEEvNS0_17copymat_directionEiiT2_iilPT0_13rocblas_fill_17rocblas_diagonal_,@function
_ZN9rocsolver6v33100L8copy_matI19rocblas_complex_numIdEdLb1EPS3_TnNSt9enable_ifIX18rocblas_is_complexIT_EEiE4typeELi0EEEvNS0_17copymat_directionEiiT2_iilPT0_13rocblas_fill_17rocblas_diagonal_: ; @_ZN9rocsolver6v33100L8copy_matI19rocblas_complex_numIdEdLb1EPS3_TnNSt9enable_ifIX18rocblas_is_complexIT_EEiE4typeELi0EEEvNS0_17copymat_directionEiiT2_iilPT0_13rocblas_fill_17rocblas_diagonal_
; %bb.0:
	s_clause 0x1
	s_load_b32 s2, s[0:1], 0x44
	s_load_b128 s[8:11], s[0:1], 0x0
	v_and_b32_e32 v2, 0x3ff, v0
	v_bfe_u32 v3, v0, 10, 10
	s_waitcnt lgkmcnt(0)
	s_lshr_b32 s3, s2, 16
	s_and_b32 s2, s2, 0xffff
	s_delay_alu instid0(VALU_DEP_1) | instid1(SALU_CYCLE_1)
	v_mad_u64_u32 v[0:1], null, s13, s2, v[2:3]
	v_mad_u64_u32 v[1:2], null, s14, s3, v[3:4]
	s_delay_alu instid0(VALU_DEP_2) | instskip(NEXT) | instid1(VALU_DEP_2)
	v_cmp_gt_u32_e32 vcc_lo, s9, v0
	v_cmp_gt_u32_e64 s2, s10, v1
	s_delay_alu instid0(VALU_DEP_1) | instskip(NEXT) | instid1(SALU_CYCLE_1)
	s_and_b32 s2, s2, vcc_lo
	s_and_saveexec_b32 s3, s2
	s_cbranch_execz .LBB36_16
; %bb.1:
	s_load_b64 s[4:5], s[0:1], 0x30
	s_mov_b32 s11, s9
	s_waitcnt lgkmcnt(0)
	s_cmpk_lt_i32 s4, 0x7a
	s_cbranch_scc1 .LBB36_4
; %bb.2:
	s_cmpk_gt_i32 s4, 0x7a
	s_cbranch_scc0 .LBB36_5
; %bb.3:
	s_cmpk_lg_i32 s4, 0x7b
	s_mov_b32 s3, -1
	s_cselect_b32 s6, -1, 0
	s_cbranch_execz .LBB36_6
	s_branch .LBB36_7
.LBB36_4:
	s_mov_b32 s6, 0
	s_mov_b32 s3, 0
	s_cbranch_execnz .LBB36_8
	s_branch .LBB36_10
.LBB36_5:
	s_mov_b32 s3, 0
	s_mov_b32 s6, 0
.LBB36_6:
	v_cmp_gt_u32_e32 vcc_lo, v0, v1
	v_cmp_le_u32_e64 s2, v0, v1
	s_and_not1_b32 s3, s3, exec_lo
	s_and_not1_b32 s6, s6, exec_lo
	s_and_b32 s7, vcc_lo, exec_lo
	s_delay_alu instid0(VALU_DEP_1)
	s_and_b32 s2, s2, exec_lo
	s_or_b32 s3, s3, s7
	s_or_b32 s6, s6, s2
.LBB36_7:
	s_branch .LBB36_10
.LBB36_8:
	s_cmpk_eq_i32 s4, 0x79
	s_mov_b32 s6, -1
	s_cbranch_scc0 .LBB36_10
; %bb.9:
	v_cmp_gt_u32_e32 vcc_lo, v1, v0
	v_cmp_le_u32_e64 s2, v1, v0
	s_and_not1_b32 s3, s3, exec_lo
	s_and_b32 s4, vcc_lo, exec_lo
	s_delay_alu instid0(VALU_DEP_1)
	s_or_not1_b32 s6, s2, exec_lo
	s_or_b32 s3, s3, s4
.LBB36_10:
	s_and_saveexec_b32 s2, s6
; %bb.11:
	v_cmp_eq_u32_e32 vcc_lo, v0, v1
	s_cmpk_eq_i32 s5, 0x83
	s_cselect_b32 s4, -1, 0
	s_and_not1_b32 s3, s3, exec_lo
	s_and_b32 s4, s4, vcc_lo
	s_delay_alu instid0(SALU_CYCLE_1) | instskip(NEXT) | instid1(SALU_CYCLE_1)
	s_and_b32 s4, s4, exec_lo
	s_or_b32 s3, s3, s4
; %bb.12:
	s_or_b32 exec_lo, exec_lo, s2
	s_delay_alu instid0(SALU_CYCLE_1)
	s_and_b32 exec_lo, exec_lo, s3
	s_cbranch_execz .LBB36_16
; %bb.13:
	s_load_b256 s[0:7], s[0:1], 0x10
	s_ashr_i32 s12, s9, 31
	s_ashr_i32 s13, s10, 31
	s_mul_i32 s16, s12, s15
	s_mul_hi_u32 s14, s9, s15
	s_mul_i32 s9, s9, s15
	s_delay_alu instid0(SALU_CYCLE_1)
	s_mul_i32 s17, s9, s13
	s_waitcnt lgkmcnt(0)
	s_mul_i32 s5, s15, s5
	s_mul_hi_u32 s12, s15, s4
	s_mul_i32 s4, s15, s4
	s_add_i32 s5, s12, s5
	s_ashr_i32 s13, s2, 31
	s_lshl_b64 s[4:5], s[4:5], 4
	s_mov_b32 s12, s2
	s_add_u32 s2, s0, s4
	s_addc_u32 s4, s1, s5
	s_lshl_b64 s[0:1], s[12:13], 4
	s_mul_hi_u32 s5, s9, s10
	s_add_u32 s0, s2, s0
	s_addc_u32 s1, s4, s1
	s_add_i32 s2, s14, s16
	s_add_i32 s4, s5, s17
	s_mul_i32 s2, s2, s10
	s_delay_alu instid0(SALU_CYCLE_1) | instskip(SKIP_1) | instid1(SALU_CYCLE_1)
	s_add_i32 s5, s4, s2
	s_mul_i32 s4, s9, s10
	s_lshl_b64 s[4:5], s[4:5], 3
	s_delay_alu instid0(SALU_CYCLE_1)
	s_add_u32 s2, s6, s4
	s_addc_u32 s4, s7, s5
	s_cmp_lg_u32 s8, 0
	s_mov_b32 s5, 0
	s_cbranch_scc0 .LBB36_17
; %bb.14:
	v_mad_u64_u32 v[2:3], null, v1, s11, v[0:1]
	v_mov_b32_e32 v3, 0
	v_mad_u64_u32 v[6:7], null, v1, s3, v[0:1]
	s_delay_alu instid0(VALU_DEP_2) | instskip(NEXT) | instid1(VALU_DEP_4)
	v_mov_b32_e32 v7, v3
	v_lshlrev_b64 v[4:5], 3, v[2:3]
	s_delay_alu instid0(VALU_DEP_2) | instskip(NEXT) | instid1(VALU_DEP_2)
	v_lshlrev_b64 v[2:3], 4, v[6:7]
	v_add_co_u32 v4, vcc_lo, s2, v4
	s_delay_alu instid0(VALU_DEP_3) | instskip(NEXT) | instid1(VALU_DEP_3)
	v_add_co_ci_u32_e32 v5, vcc_lo, s4, v5, vcc_lo
	v_add_co_u32 v2, vcc_lo, s0, v2
	s_delay_alu instid0(VALU_DEP_4)
	v_add_co_ci_u32_e32 v3, vcc_lo, s1, v3, vcc_lo
	global_load_b64 v[4:5], v[4:5], off
	s_waitcnt vmcnt(0)
	global_store_b64 v[2:3], v[4:5], off
	s_and_not1_b32 vcc_lo, exec_lo, s5
	s_cbranch_vccnz .LBB36_16
.LBB36_15:
	v_mad_u64_u32 v[2:3], null, v1, s3, v[0:1]
	v_mov_b32_e32 v3, 0
	v_mad_u64_u32 v[6:7], null, v1, s11, v[0:1]
	s_delay_alu instid0(VALU_DEP_2) | instskip(NEXT) | instid1(VALU_DEP_4)
	v_mov_b32_e32 v7, v3
	v_lshlrev_b64 v[4:5], 4, v[2:3]
	s_delay_alu instid0(VALU_DEP_2) | instskip(NEXT) | instid1(VALU_DEP_2)
	v_lshlrev_b64 v[0:1], 3, v[6:7]
	v_add_co_u32 v4, vcc_lo, s0, v4
	s_delay_alu instid0(VALU_DEP_3) | instskip(NEXT) | instid1(VALU_DEP_3)
	v_add_co_ci_u32_e32 v5, vcc_lo, s1, v5, vcc_lo
	v_add_co_u32 v0, vcc_lo, s2, v0
	s_delay_alu instid0(VALU_DEP_4)
	v_add_co_ci_u32_e32 v1, vcc_lo, s4, v1, vcc_lo
	global_load_b64 v[4:5], v[4:5], off
	s_waitcnt vmcnt(0)
	global_store_b64 v[0:1], v[4:5], off
.LBB36_16:
	s_nop 0
	s_sendmsg sendmsg(MSG_DEALLOC_VGPRS)
	s_endpgm
.LBB36_17:
	s_branch .LBB36_15
	.section	.rodata,"a",@progbits
	.p2align	6, 0x0
	.amdhsa_kernel _ZN9rocsolver6v33100L8copy_matI19rocblas_complex_numIdEdLb1EPS3_TnNSt9enable_ifIX18rocblas_is_complexIT_EEiE4typeELi0EEEvNS0_17copymat_directionEiiT2_iilPT0_13rocblas_fill_17rocblas_diagonal_
		.amdhsa_group_segment_fixed_size 0
		.amdhsa_private_segment_fixed_size 0
		.amdhsa_kernarg_size 312
		.amdhsa_user_sgpr_count 13
		.amdhsa_user_sgpr_dispatch_ptr 0
		.amdhsa_user_sgpr_queue_ptr 0
		.amdhsa_user_sgpr_kernarg_segment_ptr 1
		.amdhsa_user_sgpr_dispatch_id 0
		.amdhsa_user_sgpr_private_segment_size 0
		.amdhsa_wavefront_size32 1
		.amdhsa_uses_dynamic_stack 0
		.amdhsa_enable_private_segment 0
		.amdhsa_system_sgpr_workgroup_id_x 1
		.amdhsa_system_sgpr_workgroup_id_y 1
		.amdhsa_system_sgpr_workgroup_id_z 1
		.amdhsa_system_sgpr_workgroup_info 0
		.amdhsa_system_vgpr_workitem_id 1
		.amdhsa_next_free_vgpr 8
		.amdhsa_next_free_sgpr 18
		.amdhsa_reserve_vcc 1
		.amdhsa_float_round_mode_32 0
		.amdhsa_float_round_mode_16_64 0
		.amdhsa_float_denorm_mode_32 3
		.amdhsa_float_denorm_mode_16_64 3
		.amdhsa_dx10_clamp 1
		.amdhsa_ieee_mode 1
		.amdhsa_fp16_overflow 0
		.amdhsa_workgroup_processor_mode 1
		.amdhsa_memory_ordered 1
		.amdhsa_forward_progress 0
		.amdhsa_shared_vgpr_count 0
		.amdhsa_exception_fp_ieee_invalid_op 0
		.amdhsa_exception_fp_denorm_src 0
		.amdhsa_exception_fp_ieee_div_zero 0
		.amdhsa_exception_fp_ieee_overflow 0
		.amdhsa_exception_fp_ieee_underflow 0
		.amdhsa_exception_fp_ieee_inexact 0
		.amdhsa_exception_int_div_zero 0
	.end_amdhsa_kernel
	.section	.text._ZN9rocsolver6v33100L8copy_matI19rocblas_complex_numIdEdLb1EPS3_TnNSt9enable_ifIX18rocblas_is_complexIT_EEiE4typeELi0EEEvNS0_17copymat_directionEiiT2_iilPT0_13rocblas_fill_17rocblas_diagonal_,"axG",@progbits,_ZN9rocsolver6v33100L8copy_matI19rocblas_complex_numIdEdLb1EPS3_TnNSt9enable_ifIX18rocblas_is_complexIT_EEiE4typeELi0EEEvNS0_17copymat_directionEiiT2_iilPT0_13rocblas_fill_17rocblas_diagonal_,comdat
.Lfunc_end36:
	.size	_ZN9rocsolver6v33100L8copy_matI19rocblas_complex_numIdEdLb1EPS3_TnNSt9enable_ifIX18rocblas_is_complexIT_EEiE4typeELi0EEEvNS0_17copymat_directionEiiT2_iilPT0_13rocblas_fill_17rocblas_diagonal_, .Lfunc_end36-_ZN9rocsolver6v33100L8copy_matI19rocblas_complex_numIdEdLb1EPS3_TnNSt9enable_ifIX18rocblas_is_complexIT_EEiE4typeELi0EEEvNS0_17copymat_directionEiiT2_iilPT0_13rocblas_fill_17rocblas_diagonal_
                                        ; -- End function
	.section	.AMDGPU.csdata,"",@progbits
; Kernel info:
; codeLenInByte = 688
; NumSgprs: 20
; NumVgprs: 8
; ScratchSize: 0
; MemoryBound: 0
; FloatMode: 240
; IeeeMode: 1
; LDSByteSize: 0 bytes/workgroup (compile time only)
; SGPRBlocks: 2
; VGPRBlocks: 0
; NumSGPRsForWavesPerEU: 20
; NumVGPRsForWavesPerEU: 8
; Occupancy: 16
; WaveLimiterHint : 0
; COMPUTE_PGM_RSRC2:SCRATCH_EN: 0
; COMPUTE_PGM_RSRC2:USER_SGPR: 13
; COMPUTE_PGM_RSRC2:TRAP_HANDLER: 0
; COMPUTE_PGM_RSRC2:TGID_X_EN: 1
; COMPUTE_PGM_RSRC2:TGID_Y_EN: 1
; COMPUTE_PGM_RSRC2:TGID_Z_EN: 1
; COMPUTE_PGM_RSRC2:TIDIG_COMP_CNT: 1
	.section	.text._ZN9rocsolver6v33100L8copy_matI19rocblas_complex_numIdEdLb0EPS3_TnNSt9enable_ifIX18rocblas_is_complexIT_EEiE4typeELi0EEEvNS0_17copymat_directionEiiT2_iilPT0_13rocblas_fill_17rocblas_diagonal_,"axG",@progbits,_ZN9rocsolver6v33100L8copy_matI19rocblas_complex_numIdEdLb0EPS3_TnNSt9enable_ifIX18rocblas_is_complexIT_EEiE4typeELi0EEEvNS0_17copymat_directionEiiT2_iilPT0_13rocblas_fill_17rocblas_diagonal_,comdat
	.globl	_ZN9rocsolver6v33100L8copy_matI19rocblas_complex_numIdEdLb0EPS3_TnNSt9enable_ifIX18rocblas_is_complexIT_EEiE4typeELi0EEEvNS0_17copymat_directionEiiT2_iilPT0_13rocblas_fill_17rocblas_diagonal_ ; -- Begin function _ZN9rocsolver6v33100L8copy_matI19rocblas_complex_numIdEdLb0EPS3_TnNSt9enable_ifIX18rocblas_is_complexIT_EEiE4typeELi0EEEvNS0_17copymat_directionEiiT2_iilPT0_13rocblas_fill_17rocblas_diagonal_
	.p2align	8
	.type	_ZN9rocsolver6v33100L8copy_matI19rocblas_complex_numIdEdLb0EPS3_TnNSt9enable_ifIX18rocblas_is_complexIT_EEiE4typeELi0EEEvNS0_17copymat_directionEiiT2_iilPT0_13rocblas_fill_17rocblas_diagonal_,@function
_ZN9rocsolver6v33100L8copy_matI19rocblas_complex_numIdEdLb0EPS3_TnNSt9enable_ifIX18rocblas_is_complexIT_EEiE4typeELi0EEEvNS0_17copymat_directionEiiT2_iilPT0_13rocblas_fill_17rocblas_diagonal_: ; @_ZN9rocsolver6v33100L8copy_matI19rocblas_complex_numIdEdLb0EPS3_TnNSt9enable_ifIX18rocblas_is_complexIT_EEiE4typeELi0EEEvNS0_17copymat_directionEiiT2_iilPT0_13rocblas_fill_17rocblas_diagonal_
; %bb.0:
	s_clause 0x1
	s_load_b32 s2, s[0:1], 0x44
	s_load_b128 s[8:11], s[0:1], 0x0
	v_and_b32_e32 v2, 0x3ff, v0
	v_bfe_u32 v3, v0, 10, 10
	s_waitcnt lgkmcnt(0)
	s_lshr_b32 s3, s2, 16
	s_and_b32 s2, s2, 0xffff
	s_delay_alu instid0(VALU_DEP_1) | instid1(SALU_CYCLE_1)
	v_mad_u64_u32 v[0:1], null, s13, s2, v[2:3]
	v_mad_u64_u32 v[1:2], null, s14, s3, v[3:4]
	s_delay_alu instid0(VALU_DEP_2) | instskip(NEXT) | instid1(VALU_DEP_2)
	v_cmp_gt_u32_e32 vcc_lo, s9, v0
	v_cmp_gt_u32_e64 s2, s10, v1
	s_delay_alu instid0(VALU_DEP_1) | instskip(NEXT) | instid1(SALU_CYCLE_1)
	s_and_b32 s2, s2, vcc_lo
	s_and_saveexec_b32 s3, s2
	s_cbranch_execz .LBB37_16
; %bb.1:
	s_load_b64 s[4:5], s[0:1], 0x30
	s_mov_b32 s11, s9
	s_waitcnt lgkmcnt(0)
	s_cmpk_lt_i32 s4, 0x7a
	s_cbranch_scc1 .LBB37_4
; %bb.2:
	s_cmpk_gt_i32 s4, 0x7a
	s_cbranch_scc0 .LBB37_5
; %bb.3:
	s_cmpk_lg_i32 s4, 0x7b
	s_mov_b32 s3, -1
	s_cselect_b32 s6, -1, 0
	s_cbranch_execz .LBB37_6
	s_branch .LBB37_7
.LBB37_4:
	s_mov_b32 s6, 0
	s_mov_b32 s3, 0
	s_cbranch_execnz .LBB37_8
	s_branch .LBB37_10
.LBB37_5:
	s_mov_b32 s3, 0
	s_mov_b32 s6, 0
.LBB37_6:
	v_cmp_gt_u32_e32 vcc_lo, v0, v1
	v_cmp_le_u32_e64 s2, v0, v1
	s_and_not1_b32 s3, s3, exec_lo
	s_and_not1_b32 s6, s6, exec_lo
	s_and_b32 s7, vcc_lo, exec_lo
	s_delay_alu instid0(VALU_DEP_1)
	s_and_b32 s2, s2, exec_lo
	s_or_b32 s3, s3, s7
	s_or_b32 s6, s6, s2
.LBB37_7:
	s_branch .LBB37_10
.LBB37_8:
	s_cmpk_eq_i32 s4, 0x79
	s_mov_b32 s6, -1
	s_cbranch_scc0 .LBB37_10
; %bb.9:
	v_cmp_gt_u32_e32 vcc_lo, v1, v0
	v_cmp_le_u32_e64 s2, v1, v0
	s_and_not1_b32 s3, s3, exec_lo
	s_and_b32 s4, vcc_lo, exec_lo
	s_delay_alu instid0(VALU_DEP_1)
	s_or_not1_b32 s6, s2, exec_lo
	s_or_b32 s3, s3, s4
.LBB37_10:
	s_and_saveexec_b32 s2, s6
; %bb.11:
	v_cmp_eq_u32_e32 vcc_lo, v0, v1
	s_cmpk_eq_i32 s5, 0x83
	s_cselect_b32 s4, -1, 0
	s_and_not1_b32 s3, s3, exec_lo
	s_and_b32 s4, s4, vcc_lo
	s_delay_alu instid0(SALU_CYCLE_1) | instskip(NEXT) | instid1(SALU_CYCLE_1)
	s_and_b32 s4, s4, exec_lo
	s_or_b32 s3, s3, s4
; %bb.12:
	s_or_b32 exec_lo, exec_lo, s2
	s_delay_alu instid0(SALU_CYCLE_1)
	s_and_b32 exec_lo, exec_lo, s3
	s_cbranch_execz .LBB37_16
; %bb.13:
	s_load_b256 s[0:7], s[0:1], 0x10
	s_ashr_i32 s12, s9, 31
	s_ashr_i32 s13, s10, 31
	s_mul_i32 s16, s12, s15
	s_mul_hi_u32 s14, s9, s15
	s_mul_i32 s9, s9, s15
	s_delay_alu instid0(SALU_CYCLE_1)
	s_mul_i32 s17, s9, s13
	s_mul_hi_u32 s18, s9, s10
	s_waitcnt lgkmcnt(0)
	s_mul_i32 s5, s15, s5
	s_mul_hi_u32 s12, s15, s4
	s_mul_i32 s4, s15, s4
	s_add_i32 s5, s12, s5
	s_ashr_i32 s13, s2, 31
	s_lshl_b64 s[4:5], s[4:5], 4
	s_mov_b32 s12, s2
	s_add_u32 s2, s0, s4
	s_addc_u32 s4, s1, s5
	s_lshl_b64 s[0:1], s[12:13], 4
	v_mad_u64_u32 v[3:4], null, v1, s3, v[0:1]
	s_add_u32 s0, s2, s0
	s_addc_u32 s1, s4, s1
	s_add_i32 s2, s14, s16
	v_mov_b32_e32 v4, 0
	s_add_i32 s3, s18, s17
	s_mul_i32 s2, s2, s10
	s_mov_b32 s4, 0
	s_add_i32 s3, s3, s2
	s_mul_i32 s2, s9, s10
	v_lshlrev_b64 v[2:3], 4, v[3:4]
	s_lshl_b64 s[2:3], s[2:3], 3
	s_delay_alu instid0(SALU_CYCLE_1)
	s_add_u32 s2, s6, s2
	s_addc_u32 s3, s7, s3
	s_cmp_lg_u32 s8, 0
	s_cbranch_scc0 .LBB37_17
; %bb.14:
	v_mad_u64_u32 v[5:6], null, v1, s11, v[0:1]
	v_mov_b32_e32 v6, v4
	s_delay_alu instid0(VALU_DEP_1) | instskip(NEXT) | instid1(VALU_DEP_1)
	v_lshlrev_b64 v[4:5], 3, v[5:6]
	v_add_co_u32 v4, vcc_lo, s2, v4
	s_delay_alu instid0(VALU_DEP_2)
	v_add_co_ci_u32_e32 v5, vcc_lo, s3, v5, vcc_lo
	v_add_co_u32 v6, vcc_lo, s0, v2
	v_add_co_ci_u32_e32 v7, vcc_lo, s1, v3, vcc_lo
	global_load_b64 v[4:5], v[4:5], off
	s_waitcnt vmcnt(0)
	global_store_b64 v[6:7], v[4:5], off offset:8
	s_and_not1_b32 vcc_lo, exec_lo, s4
	s_cbranch_vccnz .LBB37_16
.LBB37_15:
	v_add_co_u32 v2, vcc_lo, s0, v2
	v_add_co_ci_u32_e32 v3, vcc_lo, s1, v3, vcc_lo
	v_mad_u64_u32 v[4:5], null, v1, s11, v[0:1]
	v_mov_b32_e32 v5, 0
	global_load_b64 v[2:3], v[2:3], off offset:8
	v_lshlrev_b64 v[0:1], 3, v[4:5]
	s_delay_alu instid0(VALU_DEP_1) | instskip(NEXT) | instid1(VALU_DEP_2)
	v_add_co_u32 v0, vcc_lo, s2, v0
	v_add_co_ci_u32_e32 v1, vcc_lo, s3, v1, vcc_lo
	s_waitcnt vmcnt(0)
	global_store_b64 v[0:1], v[2:3], off
.LBB37_16:
	s_nop 0
	s_sendmsg sendmsg(MSG_DEALLOC_VGPRS)
	s_endpgm
.LBB37_17:
	s_branch .LBB37_15
	.section	.rodata,"a",@progbits
	.p2align	6, 0x0
	.amdhsa_kernel _ZN9rocsolver6v33100L8copy_matI19rocblas_complex_numIdEdLb0EPS3_TnNSt9enable_ifIX18rocblas_is_complexIT_EEiE4typeELi0EEEvNS0_17copymat_directionEiiT2_iilPT0_13rocblas_fill_17rocblas_diagonal_
		.amdhsa_group_segment_fixed_size 0
		.amdhsa_private_segment_fixed_size 0
		.amdhsa_kernarg_size 312
		.amdhsa_user_sgpr_count 13
		.amdhsa_user_sgpr_dispatch_ptr 0
		.amdhsa_user_sgpr_queue_ptr 0
		.amdhsa_user_sgpr_kernarg_segment_ptr 1
		.amdhsa_user_sgpr_dispatch_id 0
		.amdhsa_user_sgpr_private_segment_size 0
		.amdhsa_wavefront_size32 1
		.amdhsa_uses_dynamic_stack 0
		.amdhsa_enable_private_segment 0
		.amdhsa_system_sgpr_workgroup_id_x 1
		.amdhsa_system_sgpr_workgroup_id_y 1
		.amdhsa_system_sgpr_workgroup_id_z 1
		.amdhsa_system_sgpr_workgroup_info 0
		.amdhsa_system_vgpr_workitem_id 1
		.amdhsa_next_free_vgpr 8
		.amdhsa_next_free_sgpr 19
		.amdhsa_reserve_vcc 1
		.amdhsa_float_round_mode_32 0
		.amdhsa_float_round_mode_16_64 0
		.amdhsa_float_denorm_mode_32 3
		.amdhsa_float_denorm_mode_16_64 3
		.amdhsa_dx10_clamp 1
		.amdhsa_ieee_mode 1
		.amdhsa_fp16_overflow 0
		.amdhsa_workgroup_processor_mode 1
		.amdhsa_memory_ordered 1
		.amdhsa_forward_progress 0
		.amdhsa_shared_vgpr_count 0
		.amdhsa_exception_fp_ieee_invalid_op 0
		.amdhsa_exception_fp_denorm_src 0
		.amdhsa_exception_fp_ieee_div_zero 0
		.amdhsa_exception_fp_ieee_overflow 0
		.amdhsa_exception_fp_ieee_underflow 0
		.amdhsa_exception_fp_ieee_inexact 0
		.amdhsa_exception_int_div_zero 0
	.end_amdhsa_kernel
	.section	.text._ZN9rocsolver6v33100L8copy_matI19rocblas_complex_numIdEdLb0EPS3_TnNSt9enable_ifIX18rocblas_is_complexIT_EEiE4typeELi0EEEvNS0_17copymat_directionEiiT2_iilPT0_13rocblas_fill_17rocblas_diagonal_,"axG",@progbits,_ZN9rocsolver6v33100L8copy_matI19rocblas_complex_numIdEdLb0EPS3_TnNSt9enable_ifIX18rocblas_is_complexIT_EEiE4typeELi0EEEvNS0_17copymat_directionEiiT2_iilPT0_13rocblas_fill_17rocblas_diagonal_,comdat
.Lfunc_end37:
	.size	_ZN9rocsolver6v33100L8copy_matI19rocblas_complex_numIdEdLb0EPS3_TnNSt9enable_ifIX18rocblas_is_complexIT_EEiE4typeELi0EEEvNS0_17copymat_directionEiiT2_iilPT0_13rocblas_fill_17rocblas_diagonal_, .Lfunc_end37-_ZN9rocsolver6v33100L8copy_matI19rocblas_complex_numIdEdLb0EPS3_TnNSt9enable_ifIX18rocblas_is_complexIT_EEiE4typeELi0EEEvNS0_17copymat_directionEiiT2_iilPT0_13rocblas_fill_17rocblas_diagonal_
                                        ; -- End function
	.section	.AMDGPU.csdata,"",@progbits
; Kernel info:
; codeLenInByte = 644
; NumSgprs: 21
; NumVgprs: 8
; ScratchSize: 0
; MemoryBound: 0
; FloatMode: 240
; IeeeMode: 1
; LDSByteSize: 0 bytes/workgroup (compile time only)
; SGPRBlocks: 2
; VGPRBlocks: 0
; NumSGPRsForWavesPerEU: 21
; NumVGPRsForWavesPerEU: 8
; Occupancy: 16
; WaveLimiterHint : 0
; COMPUTE_PGM_RSRC2:SCRATCH_EN: 0
; COMPUTE_PGM_RSRC2:USER_SGPR: 13
; COMPUTE_PGM_RSRC2:TRAP_HANDLER: 0
; COMPUTE_PGM_RSRC2:TGID_X_EN: 1
; COMPUTE_PGM_RSRC2:TGID_Y_EN: 1
; COMPUTE_PGM_RSRC2:TGID_Z_EN: 1
; COMPUTE_PGM_RSRC2:TIDIG_COMP_CNT: 1
	.section	.text._ZN9rocsolver6v33100L11stedcx_sortI19rocblas_complex_numIdEdPS3_EEviPT0_lT1_iiliPiS8_,"axG",@progbits,_ZN9rocsolver6v33100L11stedcx_sortI19rocblas_complex_numIdEdPS3_EEviPT0_lT1_iiliPiS8_,comdat
	.globl	_ZN9rocsolver6v33100L11stedcx_sortI19rocblas_complex_numIdEdPS3_EEviPT0_lT1_iiliPiS8_ ; -- Begin function _ZN9rocsolver6v33100L11stedcx_sortI19rocblas_complex_numIdEdPS3_EEviPT0_lT1_iiliPiS8_
	.p2align	8
	.type	_ZN9rocsolver6v33100L11stedcx_sortI19rocblas_complex_numIdEdPS3_EEviPT0_lT1_iiliPiS8_,@function
_ZN9rocsolver6v33100L11stedcx_sortI19rocblas_complex_numIdEdPS3_EEviPT0_lT1_iiliPiS8_: ; @_ZN9rocsolver6v33100L11stedcx_sortI19rocblas_complex_numIdEdPS3_EEviPT0_lT1_iiliPiS8_
; %bb.0:
	s_load_b32 s30, s[2:3], 0x30
	s_mov_b32 s32, 0
	s_waitcnt lgkmcnt(0)
	s_cmp_ge_i32 s15, s30
	s_cbranch_scc1 .LBB38_69
; %bb.1:
	s_mov_b32 s16, s15
	s_load_b32 s18, s[2:3], 0x0
	s_load_b64 s[0:1], s[0:1], 0x4
	s_clause 0x1
	s_load_b256 s[8:15], s[2:3], 0x8
	s_load_b128 s[4:7], s[2:3], 0x38
	v_and_b32_e32 v6, 0x3ff, v0
	v_bfe_u32 v7, v0, 10, 10
	v_bfe_u32 v8, v0, 20, 10
	s_clause 0x1
	s_load_b64 s[20:21], s[2:3], 0x28
	s_load_b32 s31, s[2:3], 0x50
	s_mov_b32 s23, 0
	s_mov_b32 s44, 0
                                        ; implicit-def: $sgpr45
                                        ; implicit-def: $sgpr41
                                        ; implicit-def: $sgpr46
                                        ; implicit-def: $sgpr47
	v_or3_b32 v0, v7, v8, v6
	s_waitcnt lgkmcnt(0)
	s_ashr_i32 s19, s18, 31
	s_lshr_b32 s0, s0, 16
	s_mul_hi_i32 s27, s18, s16
	s_mul_i32 s26, s18, s16
	s_add_u32 s24, s2, 0x48
	s_addc_u32 s25, s3, 0
	s_lshl_b64 s[26:27], s[26:27], 2
	s_mul_i32 s0, s0, s1
	s_add_u32 s33, s4, s26
	s_addc_u32 s34, s5, s27
	s_cmp_lg_u64 s[12:13], 0
	v_mul_lo_u32 v1, s0, v6
	s_mov_b32 s28, s14
	s_cselect_b32 s35, -1, 0
	s_ashr_i32 s29, s14, 31
	v_cmp_eq_u32_e64 s0, 0, v0
	s_lshl_b64 s[26:27], s[28:29], 4
	v_cmp_gt_i64_e64 s19, s[18:19], 0
	s_add_u32 s36, s12, s26
	s_addc_u32 s37, s13, s27
	s_cmp_lg_u64 s[6:7], 0
	v_mad_u32_u24 v0, v7, s1, v1
	v_mov_b32_e32 v1, 0
	s_cselect_b32 s38, -1, 0
	s_cmp_eq_u64 s[8:9], 0
	s_mov_b32 s43, s15
	s_cselect_b32 s39, -1, 0
	s_cmp_lg_u64 s[4:5], 0
	v_add_lshl_u32 v9, v0, v8, 4
	s_cselect_b32 s40, -1, 0
	s_cmp_gt_i32 s15, 0
	s_cselect_b32 s42, -1, 0
	s_branch .LBB38_4
.LBB38_2:                               ;   in Loop: Header=BB38_4 Depth=1
	s_or_b32 exec_lo, exec_lo, s12
	s_delay_alu instid0(SALU_CYCLE_1)
	s_and_not1_b32 s4, s47, exec_lo
	s_and_b32 s12, s14, exec_lo
	s_and_not1_b32 s13, s46, exec_lo
	s_and_b32 s1, s1, exec_lo
	s_or_b32 s47, s4, s12
	s_or_b32 s46, s13, s1
	s_or_not1_b32 s29, s17, exec_lo
.LBB38_3:                               ;   in Loop: Header=BB38_4 Depth=1
	s_or_b32 exec_lo, exec_lo, s5
	s_delay_alu instid0(SALU_CYCLE_1) | instskip(NEXT) | instid1(SALU_CYCLE_1)
	s_and_b32 s1, exec_lo, s29
	s_or_b32 s44, s1, s44
	s_and_not1_b32 s1, s41, exec_lo
	s_and_b32 s4, s47, exec_lo
	s_and_not1_b32 s5, s45, exec_lo
	s_and_b32 s12, s46, exec_lo
	s_or_b32 s41, s1, s4
	s_or_b32 s45, s5, s12
	s_and_not1_b32 exec_lo, exec_lo, s44
	s_cbranch_execz .LBB38_65
.LBB38_4:                               ; =>This Loop Header: Depth=1
                                        ;     Child Loop BB38_11 Depth 2
                                        ;     Child Loop BB38_15 Depth 2
                                        ;       Child Loop BB38_18 Depth 3
                                        ;         Child Loop BB38_22 Depth 4
                                        ;     Child Loop BB38_32 Depth 2
                                        ;     Child Loop BB38_46 Depth 2
                                        ;       Child Loop BB38_48 Depth 3
                                        ;         Child Loop BB38_53 Depth 4
                                        ;     Child Loop BB38_57 Depth 2
	s_ashr_i32 s17, s16, 31
	s_and_not1_b32 vcc_lo, exec_lo, s35
	s_mov_b64 s[12:13], 0
	s_cbranch_vccnz .LBB38_6
; %bb.5:                                ;   in Loop: Header=BB38_4 Depth=1
	s_mul_i32 s1, s16, s21
	s_mul_hi_u32 s4, s16, s20
	s_mul_i32 s5, s17, s20
	s_add_i32 s1, s4, s1
	s_mul_i32 s4, s16, s20
	s_add_i32 s5, s1, s5
	s_delay_alu instid0(SALU_CYCLE_1) | instskip(NEXT) | instid1(SALU_CYCLE_1)
	s_lshl_b64 s[4:5], s[4:5], 4
	s_add_u32 s12, s36, s4
	s_addc_u32 s13, s37, s5
.LBB38_6:                               ;   in Loop: Header=BB38_4 Depth=1
	s_and_not1_b32 vcc_lo, exec_lo, s38
	s_mov_b32 s28, s18
	s_cbranch_vccnz .LBB38_8
; %bb.7:                                ;   in Loop: Header=BB38_4 Depth=1
	s_lshl_b64 s[4:5], s[16:17], 2
	s_delay_alu instid0(SALU_CYCLE_1)
	s_add_u32 s4, s6, s4
	s_addc_u32 s5, s7, s5
	global_load_b32 v0, v1, s[4:5]
	s_waitcnt vmcnt(0)
	v_readfirstlane_b32 s28, v0
.LBB38_8:                               ;   in Loop: Header=BB38_4 Depth=1
	s_delay_alu instid0(VALU_DEP_1) | instskip(SKIP_4) | instid1(SALU_CYCLE_1)
	s_cmp_lt_i32 s28, 1
	s_mov_b32 s29, -1
	s_cselect_b32 s1, -1, 0
	s_mov_b32 s4, -1
	s_or_b32 s1, s39, s1
	s_and_b32 vcc_lo, exec_lo, s1
	s_barrier
	buffer_gl0_inv
                                        ; implicit-def: $sgpr1
                                        ; implicit-def: $sgpr14
	s_cbranch_vccnz .LBB38_41
; %bb.9:                                ;   in Loop: Header=BB38_4 Depth=1
	s_load_b64 s[4:5], s[24:25], 0xc
	s_waitcnt lgkmcnt(0)
	s_barrier
	buffer_gl0_inv
	s_lshr_b32 s1, s4, 16
	s_and_b32 s4, s4, 0xffff
	s_delay_alu instid0(SALU_CYCLE_1) | instskip(SKIP_3) | instid1(SALU_CYCLE_1)
	s_mul_i32 s48, s1, s4
	v_mul_u32_u24_e32 v2, s4, v7
	v_mul_lo_u32 v0, s48, v8
	s_and_b32 s1, s5, 0xffff
	s_mul_i32 s48, s48, s1
	s_delay_alu instid0(VALU_DEP_1) | instskip(NEXT) | instid1(VALU_DEP_1)
	v_add3_u32 v10, v2, v6, v0
	v_cmp_gt_u32_e32 vcc_lo, s28, v10
	s_and_b32 s4, s40, vcc_lo
	s_delay_alu instid0(SALU_CYCLE_1)
	s_and_saveexec_b32 s1, s4
	s_cbranch_execz .LBB38_12
; %bb.10:                               ;   in Loop: Header=BB38_4 Depth=1
	v_mov_b32_e32 v0, v10
	s_mov_b32 s4, 0
.LBB38_11:                              ;   Parent Loop BB38_4 Depth=1
                                        ; =>  This Inner Loop Header: Depth=2
	s_delay_alu instid0(VALU_DEP_1) | instskip(NEXT) | instid1(VALU_DEP_1)
	v_lshlrev_b64 v[2:3], 2, v[0:1]
	v_add_co_u32 v2, vcc_lo, s33, v2
	s_delay_alu instid0(VALU_DEP_2) | instskip(SKIP_2) | instid1(VALU_DEP_1)
	v_add_co_ci_u32_e32 v3, vcc_lo, s34, v3, vcc_lo
	global_store_b32 v[2:3], v0, off
	v_add_nc_u32_e32 v0, s48, v0
	v_cmp_le_u32_e32 vcc_lo, s28, v0
	s_or_b32 s4, vcc_lo, s4
	s_delay_alu instid0(SALU_CYCLE_1)
	s_and_not1_b32 exec_lo, exec_lo, s4
	s_cbranch_execnz .LBB38_11
.LBB38_12:                              ;   in Loop: Header=BB38_4 Depth=1
	s_or_b32 exec_lo, exec_lo, s1
	s_mul_i32 s1, s16, s11
	s_mul_hi_u32 s4, s16, s10
	s_mul_i32 s5, s17, s10
	s_add_i32 s1, s4, s1
	s_mul_i32 s4, s16, s10
	s_add_i32 s5, s1, s5
	s_waitcnt_vscnt null, 0x0
	s_lshl_b64 s[4:5], s[4:5], 3
	s_barrier
	s_add_u32 s17, s8, s4
	s_addc_u32 s49, s9, s5
	buffer_gl0_inv
	s_and_saveexec_b32 s1, s0
	s_cbranch_execz .LBB38_28
; %bb.13:                               ;   in Loop: Header=BB38_4 Depth=1
	s_mov_b32 s22, 0
	s_branch .LBB38_15
.LBB38_14:                              ;   in Loop: Header=BB38_15 Depth=2
	s_add_i32 s22, s22, 1
	s_delay_alu instid0(SALU_CYCLE_1)
	s_cmp_eq_u32 s22, 8
	s_cbranch_scc1 .LBB38_28
.LBB38_15:                              ;   Parent Loop BB38_4 Depth=1
                                        ; =>  This Loop Header: Depth=2
                                        ;       Child Loop BB38_18 Depth 3
                                        ;         Child Loop BB38_22 Depth 4
	s_getpc_b64 s[4:5]
	s_add_u32 s4, s4, __const._ZN9rocsolver6v33100L20shell_sort_ascendingIdiEEvT0_PT_PS2_.gaps@rel32@lo+4
	s_addc_u32 s5, s5, __const._ZN9rocsolver6v33100L20shell_sort_ascendingIdiEEvT0_PT_PS2_.gaps@rel32@hi+12
	s_lshl_b64 s[14:15], s[22:23], 2
	s_delay_alu instid0(SALU_CYCLE_1)
	s_add_u32 s4, s14, s4
	s_addc_u32 s5, s15, s5
	s_load_b32 s50, s[4:5], 0x0
	s_waitcnt lgkmcnt(0)
	s_cmp_ge_i32 s50, s28
	s_cbranch_scc1 .LBB38_14
; %bb.16:                               ;   in Loop: Header=BB38_15 Depth=2
	s_mov_b32 s51, 0
	s_mov_b32 s4, s50
	s_branch .LBB38_18
.LBB38_17:                              ;   in Loop: Header=BB38_18 Depth=3
	s_add_i32 s4, s4, 1
	s_add_i32 s51, s51, 1
	s_cmp_ge_i32 s4, s28
	s_cbranch_scc1 .LBB38_14
.LBB38_18:                              ;   Parent Loop BB38_4 Depth=1
                                        ;     Parent Loop BB38_15 Depth=2
                                        ; =>    This Loop Header: Depth=3
                                        ;         Child Loop BB38_22 Depth 4
	s_ashr_i32 s5, s4, 31
	s_delay_alu instid0(SALU_CYCLE_1) | instskip(NEXT) | instid1(SALU_CYCLE_1)
	s_lshl_b64 s[14:15], s[4:5], 3
	s_add_u32 s14, s17, s14
	s_addc_u32 s15, s49, s15
	s_and_not1_b32 vcc_lo, exec_lo, s40
	global_load_b64 v[2:3], v1, s[14:15]
	s_cbranch_vccnz .LBB38_20
; %bb.19:                               ;   in Loop: Header=BB38_18 Depth=3
	s_lshl_b64 s[14:15], s[4:5], 2
	s_delay_alu instid0(SALU_CYCLE_1)
	s_add_u32 s14, s33, s14
	s_addc_u32 s15, s34, s15
	global_load_b32 v0, v1, s[14:15]
	s_cmp_lt_i32 s4, s50
	s_mov_b64 s[14:15], s[4:5]
	s_mov_b32 s26, s51
	s_cbranch_scc0 .LBB38_22
	s_branch .LBB38_26
.LBB38_20:                              ;   in Loop: Header=BB38_18 Depth=3
	v_mov_b32_e32 v0, 0
	s_cmp_lt_i32 s4, s50
	s_mov_b64 s[14:15], s[4:5]
	s_mov_b32 s26, s51
	s_cbranch_scc0 .LBB38_22
	s_branch .LBB38_26
	.p2align	6
.LBB38_21:                              ;   in Loop: Header=BB38_22 Depth=4
                                        ; implicit-def: $sgpr26
	s_cbranch_execnz .LBB38_26
.LBB38_22:                              ;   Parent Loop BB38_4 Depth=1
                                        ;     Parent Loop BB38_15 Depth=2
                                        ;       Parent Loop BB38_18 Depth=3
                                        ; =>      This Inner Loop Header: Depth=4
	s_ashr_i32 s27, s26, 31
	s_add_i32 s14, s50, s26
	s_lshl_b64 s[52:53], s[26:27], 3
	s_delay_alu instid0(SALU_CYCLE_1)
	s_add_u32 s52, s17, s52
	s_addc_u32 s53, s49, s53
	s_ashr_i32 s15, s14, 31
	global_load_b64 v[4:5], v1, s[52:53]
	s_waitcnt vmcnt(0)
	v_cmp_ngt_f64_e32 vcc_lo, v[4:5], v[2:3]
	s_cbranch_vccnz .LBB38_21
; %bb.23:                               ;   in Loop: Header=BB38_22 Depth=4
	s_lshl_b64 s[52:53], s[14:15], 3
	s_delay_alu instid0(SALU_CYCLE_1)
	s_add_u32 s52, s17, s52
	s_addc_u32 s53, s49, s53
	s_and_not1_b32 vcc_lo, exec_lo, s40
	global_store_b64 v1, v[4:5], s[52:53]
	s_cbranch_vccnz .LBB38_25
; %bb.24:                               ;   in Loop: Header=BB38_22 Depth=4
	s_lshl_b64 s[14:15], s[14:15], 2
	s_delay_alu instid0(SALU_CYCLE_1) | instskip(SKIP_2) | instid1(SALU_CYCLE_1)
	s_add_u32 s14, s33, s14
	s_addc_u32 s15, s34, s15
	s_lshl_b64 s[52:53], s[26:27], 2
	s_add_u32 s52, s33, s52
	s_addc_u32 s53, s34, s53
	global_load_b32 v4, v1, s[52:53]
	s_waitcnt vmcnt(0)
	global_store_b32 v1, v4, s[14:15]
.LBB38_25:                              ;   in Loop: Header=BB38_22 Depth=4
	s_sub_i32 s52, s26, s50
	s_cmp_lt_i32 s26, s50
	s_mov_b64 s[14:15], s[26:27]
	s_cselect_b32 s5, -1, 0
	s_mov_b32 s26, s52
	s_and_b32 vcc_lo, exec_lo, s5
	s_cbranch_vccz .LBB38_22
.LBB38_26:                              ;   in Loop: Header=BB38_18 Depth=3
	s_lshl_b64 s[26:27], s[14:15], 3
	s_delay_alu instid0(SALU_CYCLE_1)
	s_add_u32 s26, s17, s26
	s_addc_u32 s27, s49, s27
	s_and_not1_b32 vcc_lo, exec_lo, s40
	s_waitcnt vmcnt(0)
	global_store_b64 v1, v[2:3], s[26:27]
	s_cbranch_vccnz .LBB38_17
; %bb.27:                               ;   in Loop: Header=BB38_18 Depth=3
	s_lshl_b64 s[14:15], s[14:15], 2
	s_delay_alu instid0(SALU_CYCLE_1)
	s_add_u32 s14, s33, s14
	s_addc_u32 s15, s34, s15
	global_store_b32 v1, v0, s[14:15]
	s_branch .LBB38_17
.LBB38_28:                              ;   in Loop: Header=BB38_4 Depth=1
	s_or_b32 exec_lo, exec_lo, s1
	s_cmp_lt_i32 s28, 2
	s_waitcnt_vscnt null, 0x0
	s_cselect_b32 s15, -1, 0
	s_barrier
	s_and_b32 vcc_lo, exec_lo, s15
	buffer_gl0_inv
	s_cbranch_vccnz .LBB38_36
; %bb.29:                               ;   in Loop: Header=BB38_4 Depth=1
	s_add_i32 s5, s28, -1
	s_mov_b32 s15, -1
	s_mov_b32 s4, exec_lo
                                        ; implicit-def: $sgpr1
                                        ; implicit-def: $sgpr14
	v_cmpx_gt_u32_e64 s5, v10
	s_cbranch_execz .LBB38_38
; %bb.30:                               ;   in Loop: Header=BB38_4 Depth=1
	v_mov_b32_e32 v0, v10
	s_add_u32 s14, s17, 8
	s_addc_u32 s22, s49, 0
	s_mov_b32 s15, 0
                                        ; implicit-def: $sgpr27
                                        ; implicit-def: $sgpr50
                                        ; implicit-def: $sgpr26
	s_branch .LBB38_32
.LBB38_31:                              ;   in Loop: Header=BB38_32 Depth=2
	s_or_b32 exec_lo, exec_lo, s55
	s_xor_b32 s52, s54, -1
	s_and_b32 s53, exec_lo, s53
	s_delay_alu instid0(SALU_CYCLE_1)
	s_or_b32 s15, s53, s15
	s_and_not1_b32 s26, s26, exec_lo
	s_and_b32 s52, s52, exec_lo
	s_and_not1_b32 s50, s50, exec_lo
	s_and_b32 s51, s51, exec_lo
	;; [unrolled: 2-line block ×3, first 2 shown]
	s_or_b32 s26, s26, s52
	s_or_b32 s50, s50, s51
	;; [unrolled: 1-line block ×3, first 2 shown]
	s_and_not1_b32 exec_lo, exec_lo, s15
	s_cbranch_execz .LBB38_37
.LBB38_32:                              ;   Parent Loop BB38_4 Depth=1
                                        ; =>  This Inner Loop Header: Depth=2
	v_lshlrev_b64 v[2:3], 3, v[0:1]
	s_mov_b32 s53, exec_lo
                                        ; implicit-def: $sgpr51
                                        ; implicit-def: $sgpr1
	s_delay_alu instid0(VALU_DEP_1) | instskip(NEXT) | instid1(VALU_DEP_2)
	v_add_co_u32 v2, vcc_lo, s17, v2
	v_add_co_ci_u32_e32 v3, vcc_lo, s49, v3, vcc_lo
	global_load_b64 v[2:3], v[2:3], off
	s_waitcnt vmcnt(0)
	v_cmp_u_f64_e64 s52, v[2:3], v[2:3]
	v_cmpx_o_f64_e32 v[2:3], v[2:3]
	s_cbranch_execz .LBB38_34
; %bb.33:                               ;   in Loop: Header=BB38_32 Depth=2
	v_ashrrev_i32_e32 v5, 31, v0
	v_mov_b32_e32 v4, v0
	s_delay_alu instid0(VALU_DEP_4) | instskip(NEXT) | instid1(VALU_DEP_1)
	s_and_not1_b32 s52, s52, exec_lo
	v_lshlrev_b64 v[4:5], 3, v[4:5]
	s_delay_alu instid0(VALU_DEP_1) | instskip(NEXT) | instid1(VALU_DEP_2)
	v_add_co_u32 v4, vcc_lo, s14, v4
	v_add_co_ci_u32_e32 v5, vcc_lo, s22, v5, vcc_lo
	global_load_b64 v[4:5], v[4:5], off
	s_waitcnt vmcnt(0)
	v_cmp_u_f64_e32 vcc_lo, v[4:5], v[4:5]
	v_cmp_le_f64_e64 s1, v[2:3], v[4:5]
	s_delay_alu instid0(VALU_DEP_1)
	s_or_b32 s51, vcc_lo, s1
	s_mov_b32 s1, 0
	s_and_b32 s54, s51, exec_lo
	s_mov_b32 s51, -1
	s_or_b32 s52, s52, s54
.LBB38_34:                              ;   in Loop: Header=BB38_32 Depth=2
	s_or_b32 exec_lo, exec_lo, s53
	s_mov_b32 s53, -1
	s_mov_b32 s54, s51
	s_delay_alu instid0(VALU_DEP_2)
	s_and_saveexec_b32 s55, s52
	s_cbranch_execz .LBB38_31
; %bb.35:                               ;   in Loop: Header=BB38_32 Depth=2
	v_add_nc_u32_e32 v0, s48, v0
	s_and_not1_b32 s54, s51, exec_lo
	s_delay_alu instid0(VALU_DEP_1)
	v_cmp_le_u32_e32 vcc_lo, s5, v0
	s_or_not1_b32 s53, vcc_lo, exec_lo
	s_branch .LBB38_31
.LBB38_36:                              ;   in Loop: Header=BB38_4 Depth=1
                                        ; implicit-def: $sgpr1
                                        ; implicit-def: $sgpr14
	s_mov_b32 s4, 0
	s_and_saveexec_b32 s5, s15
	s_cbranch_execnz .LBB38_39
	s_branch .LBB38_40
.LBB38_37:                              ;   in Loop: Header=BB38_4 Depth=1
	s_or_b32 exec_lo, exec_lo, s15
	s_delay_alu instid0(SALU_CYCLE_1)
	s_and_b32 s14, s27, exec_lo
	s_and_b32 s1, s50, exec_lo
	s_or_not1_b32 s15, s26, exec_lo
.LBB38_38:                              ;   in Loop: Header=BB38_4 Depth=1
	s_or_b32 exec_lo, exec_lo, s4
	s_mov_b32 s4, 0
	s_and_saveexec_b32 s5, s15
	s_cbranch_execz .LBB38_40
.LBB38_39:                              ;   in Loop: Header=BB38_4 Depth=1
	s_mov_b32 s4, exec_lo
	s_and_not1_b32 s14, s14, exec_lo
	s_and_not1_b32 s1, s1, exec_lo
	s_barrier
	buffer_gl0_inv
.LBB38_40:                              ;   in Loop: Header=BB38_4 Depth=1
	s_or_b32 exec_lo, exec_lo, s5
.LBB38_41:                              ;   in Loop: Header=BB38_4 Depth=1
	s_delay_alu instid0(SALU_CYCLE_1)
	s_and_not1_b32 s5, s47, exec_lo
	s_and_b32 s14, s14, exec_lo
	s_and_not1_b32 s15, s46, exec_lo
	s_and_b32 s1, s1, exec_lo
	s_or_b32 s47, s5, s14
	s_or_b32 s46, s15, s1
	s_and_saveexec_b32 s5, s4
	s_cbranch_execz .LBB38_3
; %bb.42:                               ;   in Loop: Header=BB38_4 Depth=1
	s_cmp_lg_u64 s[12:13], 0
	s_mov_b32 s17, -1
	s_cselect_b32 s1, -1, 0
	s_mov_b32 s4, -1
	s_and_b32 s1, s19, s1
	s_delay_alu instid0(SALU_CYCLE_1)
	s_and_b32 s1, s42, s1
	s_barrier
	s_and_b32 s1, s40, s1
	buffer_gl0_inv
	s_and_b32 vcc_lo, exec_lo, s1
                                        ; implicit-def: $sgpr14
                                        ; implicit-def: $sgpr1
	s_cbranch_vccz .LBB38_63
; %bb.43:                               ;   in Loop: Header=BB38_4 Depth=1
	s_load_b64 s[14:15], s[24:25], 0xc
	s_waitcnt lgkmcnt(0)
	s_lshr_b32 s1, s14, 16
	s_and_b32 s4, s14, 0xffff
	s_delay_alu instid0(SALU_CYCLE_1)
	s_mul_i32 s49, s1, s4
	v_mul_u32_u24_e32 v2, s4, v7
	v_mul_lo_u32 v0, s49, v8
	s_and_b32 s1, s15, 0xffff
	s_cmp_lt_i32 s28, 0
	s_mul_i32 s49, s49, s1
	s_cselect_b32 s48, s18, s28
	s_delay_alu instid0(SALU_CYCLE_1) | instskip(NEXT) | instid1(VALU_DEP_1)
	s_cmp_eq_u32 s48, 0
	v_add3_u32 v2, v2, v6, v0
	s_cbranch_scc1 .LBB38_54
; %bb.44:                               ;   in Loop: Header=BB38_4 Depth=1
	s_delay_alu instid0(VALU_DEP_1)
	v_cmp_eq_u32_e64 s1, 0, v2
	v_cmp_gt_u32_e64 s4, s18, v2
	s_mov_b32 s22, 0
	s_branch .LBB38_46
.LBB38_45:                              ;   in Loop: Header=BB38_46 Depth=2
	s_add_i32 s22, s22, 1
	s_delay_alu instid0(SALU_CYCLE_1)
	s_cmp_eq_u32 s22, s48
	s_cbranch_scc1 .LBB38_54
.LBB38_46:                              ;   Parent Loop BB38_4 Depth=1
                                        ; =>  This Loop Header: Depth=2
                                        ;       Child Loop BB38_48 Depth 3
                                        ;         Child Loop BB38_53 Depth 4
	s_lshl_b64 s[14:15], s[22:23], 2
	s_delay_alu instid0(SALU_CYCLE_1)
	s_add_u32 s14, s33, s14
	s_addc_u32 s15, s34, s15
	s_barrier
	s_branch .LBB38_48
.LBB38_47:                              ;   in Loop: Header=BB38_48 Depth=3
	s_or_b32 exec_lo, exec_lo, s28
	s_waitcnt lgkmcnt(0)
	s_waitcnt_vscnt null, 0x0
	s_barrier
.LBB38_48:                              ;   Parent Loop BB38_4 Depth=1
                                        ;     Parent Loop BB38_46 Depth=2
                                        ; =>    This Loop Header: Depth=3
                                        ;         Child Loop BB38_53 Depth 4
	buffer_gl0_inv
	global_load_b32 v0, v1, s[14:15]
	s_waitcnt vmcnt(0)
	v_cmp_eq_u32_e32 vcc_lo, s22, v0
	v_readfirstlane_b32 s26, v0
	s_cbranch_vccnz .LBB38_45
; %bb.49:                               ;   in Loop: Header=BB38_48 Depth=3
	s_delay_alu instid0(VALU_DEP_1) | instskip(NEXT) | instid1(SALU_CYCLE_1)
	s_ashr_i32 s27, s26, 31
	s_lshl_b64 s[28:29], s[26:27], 2
	s_delay_alu instid0(SALU_CYCLE_1)
	s_add_u32 s28, s33, s28
	s_addc_u32 s29, s34, s29
	global_load_b32 v0, v1, s[28:29]
	s_waitcnt vmcnt(0)
	s_barrier
	buffer_gl0_inv
	v_readfirstlane_b32 s50, v0
	s_and_saveexec_b32 s51, s1
; %bb.50:                               ;   in Loop: Header=BB38_48 Depth=3
	s_delay_alu instid0(VALU_DEP_1)
	v_dual_mov_b32 v0, s26 :: v_dual_mov_b32 v3, s50
	s_clause 0x1
	global_store_b32 v1, v0, s[28:29]
	global_store_b32 v1, v3, s[14:15]
; %bb.51:                               ;   in Loop: Header=BB38_48 Depth=3
	s_or_b32 exec_lo, exec_lo, s51
	s_waitcnt_vscnt null, 0x0
	s_barrier
	buffer_gl0_inv
	s_and_saveexec_b32 s28, s4
	s_cbranch_execz .LBB38_47
; %bb.52:                               ;   in Loop: Header=BB38_48 Depth=3
	s_mul_i32 s27, s27, s43
	s_mul_hi_u32 s29, s26, s43
	s_mul_i32 s26, s26, s43
	s_add_i32 s27, s29, s27
	s_ashr_i32 s29, s50, 31
	s_mul_hi_u32 s51, s50, s43
	s_mul_i32 s29, s29, s43
	s_lshl_b64 s[26:27], s[26:27], 4
	s_add_i32 s51, s51, s29
	s_mul_i32 s50, s50, s43
	s_add_u32 s26, s12, s26
	s_addc_u32 s27, s13, s27
	s_lshl_b64 s[50:51], s[50:51], 4
	v_mov_b32_e32 v0, v2
	s_add_u32 s29, s12, s50
	s_addc_u32 s50, s13, s51
	s_mov_b32 s51, 0
	.p2align	6
.LBB38_53:                              ;   Parent Loop BB38_4 Depth=1
                                        ;     Parent Loop BB38_46 Depth=2
                                        ;       Parent Loop BB38_48 Depth=3
                                        ; =>      This Inner Loop Header: Depth=4
	s_delay_alu instid0(VALU_DEP_1) | instskip(SKIP_1) | instid1(VALU_DEP_2)
	v_lshlrev_b64 v[3:4], 4, v[0:1]
	v_add_nc_u32_e32 v0, s49, v0
	v_add_co_u32 v14, vcc_lo, s26, v3
	s_delay_alu instid0(VALU_DEP_3)
	v_add_co_ci_u32_e32 v15, vcc_lo, s27, v4, vcc_lo
	v_add_co_u32 v3, vcc_lo, s29, v3
	v_add_co_ci_u32_e32 v4, vcc_lo, s50, v4, vcc_lo
	flat_load_b128 v[10:13], v[14:15]
	v_cmp_le_u32_e32 vcc_lo, s18, v0
	s_or_b32 s51, vcc_lo, s51
	s_waitcnt vmcnt(0) lgkmcnt(0)
	ds_store_2addr_b64 v9, v[10:11], v[12:13] offset1:1
	flat_load_b128 v[10:13], v[3:4]
	s_waitcnt vmcnt(0) lgkmcnt(0)
	flat_store_b128 v[14:15], v[10:13]
	ds_load_2addr_b64 v[10:13], v9 offset1:1
	s_waitcnt lgkmcnt(0)
	flat_store_b128 v[3:4], v[10:13]
	s_and_not1_b32 exec_lo, exec_lo, s51
	s_cbranch_execnz .LBB38_53
	s_branch .LBB38_47
.LBB38_54:                              ;   in Loop: Header=BB38_4 Depth=1
	s_mov_b32 s12, -1
	s_mov_b32 s4, exec_lo
	s_barrier
	buffer_gl0_inv
                                        ; implicit-def: $sgpr14
                                        ; implicit-def: $sgpr1
	v_cmpx_gt_u32_e64 s48, v2
	s_cbranch_execz .LBB38_60
; %bb.55:                               ;   in Loop: Header=BB38_4 Depth=1
	v_mov_b32_e32 v0, v2
	s_mov_b32 s1, 0
                                        ; implicit-def: $sgpr12
                                        ; implicit-def: $sgpr14
                                        ; implicit-def: $sgpr13
	s_set_inst_prefetch_distance 0x1
	s_branch .LBB38_57
	.p2align	6
.LBB38_56:                              ;   in Loop: Header=BB38_57 Depth=2
	s_or_b32 exec_lo, exec_lo, s15
	s_xor_b32 s15, s13, -1
	s_and_b32 s22, exec_lo, s14
	s_delay_alu instid0(SALU_CYCLE_1) | instskip(SKIP_2) | instid1(SALU_CYCLE_1)
	s_or_b32 s1, s22, s1
	s_and_not1_b32 s12, s12, exec_lo
	s_and_b32 s15, s15, exec_lo
	s_or_b32 s12, s12, s15
	s_and_not1_b32 exec_lo, exec_lo, s1
	s_cbranch_execz .LBB38_59
.LBB38_57:                              ;   Parent Loop BB38_4 Depth=1
                                        ; =>  This Inner Loop Header: Depth=2
	s_delay_alu instid0(VALU_DEP_1) | instskip(SKIP_3) | instid1(VALU_DEP_1)
	v_lshlrev_b64 v[2:3], 2, v[0:1]
	s_or_b32 s13, s13, exec_lo
	s_or_b32 s14, s14, exec_lo
	s_mov_b32 s15, exec_lo
	v_add_co_u32 v2, vcc_lo, s33, v2
	s_delay_alu instid0(VALU_DEP_2)
	v_add_co_ci_u32_e32 v3, vcc_lo, s34, v3, vcc_lo
	global_load_b32 v2, v[2:3], off
	s_waitcnt vmcnt(0)
	v_cmpx_eq_u32_e64 v0, v2
	s_cbranch_execz .LBB38_56
; %bb.58:                               ;   in Loop: Header=BB38_57 Depth=2
	v_add_nc_u32_e32 v0, s49, v0
	s_and_not1_b32 s14, s14, exec_lo
	s_and_not1_b32 s13, s13, exec_lo
	s_delay_alu instid0(VALU_DEP_1) | instskip(SKIP_1) | instid1(SALU_CYCLE_1)
	v_cmp_le_u32_e32 vcc_lo, s48, v0
	s_and_b32 s22, vcc_lo, exec_lo
	s_or_b32 s14, s14, s22
	s_branch .LBB38_56
.LBB38_59:                              ;   in Loop: Header=BB38_4 Depth=1
	s_set_inst_prefetch_distance 0x2
	s_or_b32 exec_lo, exec_lo, s1
	s_mov_b32 s1, 0
	s_mov_b32 s14, -1
	s_or_not1_b32 s12, s12, exec_lo
.LBB38_60:                              ;   in Loop: Header=BB38_4 Depth=1
	s_or_b32 exec_lo, exec_lo, s4
	s_mov_b32 s4, 0
	s_and_saveexec_b32 s13, s12
	s_cbranch_execz .LBB38_62
; %bb.61:                               ;   in Loop: Header=BB38_4 Depth=1
	s_mov_b32 s4, exec_lo
	s_barrier
	buffer_gl0_inv
                                        ; implicit-def: $sgpr14
                                        ; implicit-def: $sgpr1
.LBB38_62:                              ;   in Loop: Header=BB38_4 Depth=1
	s_or_b32 exec_lo, exec_lo, s13
.LBB38_63:                              ;   in Loop: Header=BB38_4 Depth=1
	s_and_saveexec_b32 s12, s4
	s_cbranch_execz .LBB38_2
; %bb.64:                               ;   in Loop: Header=BB38_4 Depth=1
	s_add_i32 s16, s16, s31
	s_delay_alu instid0(SALU_CYCLE_1)
	s_cmp_ge_i32 s16, s30
	s_barrier
	s_cselect_b32 s4, -1, 0
	s_and_not1_b32 s14, s14, exec_lo
	s_and_not1_b32 s1, s1, exec_lo
	s_or_not1_b32 s17, s4, exec_lo
	buffer_gl0_inv
	s_branch .LBB38_2
.LBB38_65:
	s_or_b32 exec_lo, exec_lo, s44
	s_xor_b32 s0, s45, -1
	s_mov_b32 s21, 0
	s_and_saveexec_b32 s1, s0
	s_delay_alu instid0(SALU_CYCLE_1)
	s_xor_b32 s24, exec_lo, s1
	s_cbranch_execnz .LBB38_70
; %bb.66:
	s_and_not1_saveexec_b32 s22, s24
	s_cbranch_execnz .LBB38_73
.LBB38_67:
	s_or_b32 exec_lo, exec_lo, s22
	s_and_saveexec_b32 s0, s21
.LBB38_68:
	; divergent unreachable
.LBB38_69:
	s_endpgm
.LBB38_70:
	s_mov_b32 s0, 0
	s_and_saveexec_b32 s1, s41
	s_delay_alu instid0(SALU_CYCLE_1)
	s_xor_b32 s21, exec_lo, s1
	s_cbranch_execz .LBB38_72
; %bb.71:
	s_add_u32 s8, s2, 0x48
	s_addc_u32 s9, s3, 0
	s_getpc_b64 s[0:1]
	s_add_u32 s0, s0, .str.6@rel32@lo+4
	s_addc_u32 s1, s1, .str.6@rel32@hi+12
	s_getpc_b64 s[4:5]
	s_add_u32 s4, s4, __PRETTY_FUNCTION__._ZN9rocsolver6v33100L12permute_swapI19rocblas_complex_numIdEiEEvT0_PT_S4_PS4_S4_@rel32@lo+4
	s_addc_u32 s5, s5, __PRETTY_FUNCTION__._ZN9rocsolver6v33100L12permute_swapI19rocblas_complex_numIdEiEEvT0_PT_S4_PS4_S4_@rel32@hi+12
	v_dual_mov_b32 v0, s0 :: v_dual_mov_b32 v1, s1
	v_dual_mov_b32 v2, 0x25b :: v_dual_mov_b32 v3, s4
	v_mov_b32_e32 v4, s5
	s_getpc_b64 s[6:7]
	s_add_u32 s6, s6, __assert_fail@rel32@lo+4
	s_addc_u32 s7, s7, __assert_fail@rel32@hi+12
	s_mov_b64 s[22:23], s[2:3]
	s_swappc_b64 s[30:31], s[6:7]
	s_mov_b64 s[2:3], s[22:23]
	s_mov_b32 s0, exec_lo
.LBB38_72:
	s_or_b32 exec_lo, exec_lo, s21
	s_delay_alu instid0(SALU_CYCLE_1)
	s_and_b32 s21, s0, exec_lo
	s_and_not1_saveexec_b32 s22, s24
	s_cbranch_execz .LBB38_67
.LBB38_73:
	s_add_u32 s8, s2, 0x48
	s_addc_u32 s9, s3, 0
	s_getpc_b64 s[0:1]
	s_add_u32 s0, s0, .str.3@rel32@lo+4
	s_addc_u32 s1, s1, .str.3@rel32@hi+12
	s_getpc_b64 s[2:3]
	s_add_u32 s2, s2, __PRETTY_FUNCTION__._ZN9rocsolver6v33100L20shell_sort_ascendingIdiEEvT0_PT_PS2_@rel32@lo+4
	s_addc_u32 s3, s3, __PRETTY_FUNCTION__._ZN9rocsolver6v33100L20shell_sort_ascendingIdiEEvT0_PT_PS2_@rel32@hi+12
	v_dual_mov_b32 v0, s0 :: v_dual_mov_b32 v1, s1
	v_dual_mov_b32 v2, 0xea :: v_dual_mov_b32 v3, s2
	v_mov_b32_e32 v4, s3
	s_getpc_b64 s[4:5]
	s_add_u32 s4, s4, __assert_fail@rel32@lo+4
	s_addc_u32 s5, s5, __assert_fail@rel32@hi+12
	s_delay_alu instid0(SALU_CYCLE_1)
	s_swappc_b64 s[30:31], s[4:5]
	s_or_b32 s21, s21, exec_lo
	s_or_b32 exec_lo, exec_lo, s22
	s_and_saveexec_b32 s0, s21
	s_cbranch_execnz .LBB38_68
	s_branch .LBB38_69
	.section	.rodata,"a",@progbits
	.p2align	6, 0x0
	.amdhsa_kernel _ZN9rocsolver6v33100L11stedcx_sortI19rocblas_complex_numIdEdPS3_EEviPT0_lT1_iiliPiS8_
		.amdhsa_group_segment_fixed_size 4096
		.amdhsa_private_segment_fixed_size 64
		.amdhsa_kernarg_size 328
		.amdhsa_user_sgpr_count 14
		.amdhsa_user_sgpr_dispatch_ptr 1
		.amdhsa_user_sgpr_queue_ptr 0
		.amdhsa_user_sgpr_kernarg_segment_ptr 1
		.amdhsa_user_sgpr_dispatch_id 0
		.amdhsa_user_sgpr_private_segment_size 0
		.amdhsa_wavefront_size32 1
		.amdhsa_uses_dynamic_stack 0
		.amdhsa_enable_private_segment 1
		.amdhsa_system_sgpr_workgroup_id_x 1
		.amdhsa_system_sgpr_workgroup_id_y 0
		.amdhsa_system_sgpr_workgroup_id_z 1
		.amdhsa_system_sgpr_workgroup_info 0
		.amdhsa_system_vgpr_workitem_id 2
		.amdhsa_next_free_vgpr 51
		.amdhsa_next_free_sgpr 56
		.amdhsa_reserve_vcc 1
		.amdhsa_float_round_mode_32 0
		.amdhsa_float_round_mode_16_64 0
		.amdhsa_float_denorm_mode_32 3
		.amdhsa_float_denorm_mode_16_64 3
		.amdhsa_dx10_clamp 1
		.amdhsa_ieee_mode 1
		.amdhsa_fp16_overflow 0
		.amdhsa_workgroup_processor_mode 1
		.amdhsa_memory_ordered 1
		.amdhsa_forward_progress 0
		.amdhsa_shared_vgpr_count 0
		.amdhsa_exception_fp_ieee_invalid_op 0
		.amdhsa_exception_fp_denorm_src 0
		.amdhsa_exception_fp_ieee_div_zero 0
		.amdhsa_exception_fp_ieee_overflow 0
		.amdhsa_exception_fp_ieee_underflow 0
		.amdhsa_exception_fp_ieee_inexact 0
		.amdhsa_exception_int_div_zero 0
	.end_amdhsa_kernel
	.section	.text._ZN9rocsolver6v33100L11stedcx_sortI19rocblas_complex_numIdEdPS3_EEviPT0_lT1_iiliPiS8_,"axG",@progbits,_ZN9rocsolver6v33100L11stedcx_sortI19rocblas_complex_numIdEdPS3_EEviPT0_lT1_iiliPiS8_,comdat
.Lfunc_end38:
	.size	_ZN9rocsolver6v33100L11stedcx_sortI19rocblas_complex_numIdEdPS3_EEviPT0_lT1_iiliPiS8_, .Lfunc_end38-_ZN9rocsolver6v33100L11stedcx_sortI19rocblas_complex_numIdEdPS3_EEviPT0_lT1_iiliPiS8_
                                        ; -- End function
	.section	.AMDGPU.csdata,"",@progbits
; Kernel info:
; codeLenInByte = 2808
; NumSgprs: 58
; NumVgprs: 51
; ScratchSize: 64
; MemoryBound: 0
; FloatMode: 240
; IeeeMode: 1
; LDSByteSize: 4096 bytes/workgroup (compile time only)
; SGPRBlocks: 7
; VGPRBlocks: 6
; NumSGPRsForWavesPerEU: 58
; NumVGPRsForWavesPerEU: 51
; Occupancy: 16
; WaveLimiterHint : 1
; COMPUTE_PGM_RSRC2:SCRATCH_EN: 1
; COMPUTE_PGM_RSRC2:USER_SGPR: 14
; COMPUTE_PGM_RSRC2:TRAP_HANDLER: 0
; COMPUTE_PGM_RSRC2:TGID_X_EN: 1
; COMPUTE_PGM_RSRC2:TGID_Y_EN: 0
; COMPUTE_PGM_RSRC2:TGID_Z_EN: 1
; COMPUTE_PGM_RSRC2:TIDIG_COMP_CNT: 2
	.text
	.p2alignl 7, 3214868480
	.fill 96, 4, 3214868480
	.type	__const.__assert_fail.fmt,@object ; @__const.__assert_fail.fmt
	.section	.rodata.str1.16,"aMS",@progbits,1
	.p2align	4, 0x0
__const.__assert_fail.fmt:
	.asciz	"%s:%u: %s: Device-side assertion `%s' failed.\n"
	.size	__const.__assert_fail.fmt, 47

	.type	__const._ZN9rocsolver6v33100L20shell_sort_ascendingIfiEEvT0_PT_PS2_.gaps,@object ; @__const._ZN9rocsolver6v33100L20shell_sort_ascendingIfiEEvT0_PT_PS2_.gaps
	.section	.rodata.cst32,"aM",@progbits,32
	.p2align	4, 0x0
__const._ZN9rocsolver6v33100L20shell_sort_ascendingIfiEEvT0_PT_PS2_.gaps:
	.long	701                             ; 0x2bd
	.long	301                             ; 0x12d
	;; [unrolled: 1-line block ×3, first 2 shown]
	.long	57                              ; 0x39
	.long	23                              ; 0x17
	;; [unrolled: 1-line block ×3, first 2 shown]
	.long	4                               ; 0x4
	.long	1                               ; 0x1
	.size	__const._ZN9rocsolver6v33100L20shell_sort_ascendingIfiEEvT0_PT_PS2_.gaps, 32

	.type	.str.3,@object                  ; @.str.3
	.section	.rodata.str1.1,"aMS",@progbits,1
.str.3:
	.asciz	"std::isnan(a[k]) || std::isnan(a[k + 1]) || a[k] <= a[k + 1]"
	.size	.str.3, 61

	.type	.str.4,@object                  ; @.str.4
.str.4:
	.asciz	"/root/src/amdgpu-assembly/repos/ROCm__rocSOLVER/library/src/include/lib_device_helpers.hpp"
	.size	.str.4, 91

	.type	__PRETTY_FUNCTION__._ZN9rocsolver6v33100L20shell_sort_ascendingIfiEEvT0_PT_PS2_,@object ; @__PRETTY_FUNCTION__._ZN9rocsolver6v33100L20shell_sort_ascendingIfiEEvT0_PT_PS2_
__PRETTY_FUNCTION__._ZN9rocsolver6v33100L20shell_sort_ascendingIfiEEvT0_PT_PS2_:
	.asciz	"void rocsolver::shell_sort_ascending(const I, S *, I *) [S = float, I = int]"
	.size	__PRETTY_FUNCTION__._ZN9rocsolver6v33100L20shell_sort_ascendingIfiEEvT0_PT_PS2_, 77

	.type	.str.6,@object                  ; @.str.6
.str.6:
	.asciz	"std::isnan(map[k]) || map[k] == k"
	.size	.str.6, 34

	.type	__PRETTY_FUNCTION__._ZN9rocsolver6v33100L12permute_swapIfiEEvT0_PT_S2_PS2_S2_,@object ; @__PRETTY_FUNCTION__._ZN9rocsolver6v33100L12permute_swapIfiEEvT0_PT_S2_PS2_S2_
__PRETTY_FUNCTION__._ZN9rocsolver6v33100L12permute_swapIfiEEvT0_PT_S2_PS2_S2_:
	.asciz	"void rocsolver::permute_swap(const I, T *, I, I *, const I) [T = float, I = int]"
	.size	__PRETTY_FUNCTION__._ZN9rocsolver6v33100L12permute_swapIfiEEvT0_PT_S2_PS2_S2_, 81

	.type	__const._ZN9rocsolver6v33100L20shell_sort_ascendingIdiEEvT0_PT_PS2_.gaps,@object ; @__const._ZN9rocsolver6v33100L20shell_sort_ascendingIdiEEvT0_PT_PS2_.gaps
	.section	.rodata.cst32,"aM",@progbits,32
	.p2align	4, 0x0
__const._ZN9rocsolver6v33100L20shell_sort_ascendingIdiEEvT0_PT_PS2_.gaps:
	.long	701                             ; 0x2bd
	.long	301                             ; 0x12d
	;; [unrolled: 1-line block ×3, first 2 shown]
	.long	57                              ; 0x39
	.long	23                              ; 0x17
	;; [unrolled: 1-line block ×3, first 2 shown]
	.long	4                               ; 0x4
	.long	1                               ; 0x1
	.size	__const._ZN9rocsolver6v33100L20shell_sort_ascendingIdiEEvT0_PT_PS2_.gaps, 32

	.type	__PRETTY_FUNCTION__._ZN9rocsolver6v33100L20shell_sort_ascendingIdiEEvT0_PT_PS2_,@object ; @__PRETTY_FUNCTION__._ZN9rocsolver6v33100L20shell_sort_ascendingIdiEEvT0_PT_PS2_
	.section	.rodata.str1.1,"aMS",@progbits,1
__PRETTY_FUNCTION__._ZN9rocsolver6v33100L20shell_sort_ascendingIdiEEvT0_PT_PS2_:
	.asciz	"void rocsolver::shell_sort_ascending(const I, S *, I *) [S = double, I = int]"
	.size	__PRETTY_FUNCTION__._ZN9rocsolver6v33100L20shell_sort_ascendingIdiEEvT0_PT_PS2_, 78

	.type	__PRETTY_FUNCTION__._ZN9rocsolver6v33100L12permute_swapIdiEEvT0_PT_S2_PS2_S2_,@object ; @__PRETTY_FUNCTION__._ZN9rocsolver6v33100L12permute_swapIdiEEvT0_PT_S2_PS2_S2_
__PRETTY_FUNCTION__._ZN9rocsolver6v33100L12permute_swapIdiEEvT0_PT_S2_PS2_S2_:
	.asciz	"void rocsolver::permute_swap(const I, T *, I, I *, const I) [T = double, I = int]"
	.size	__PRETTY_FUNCTION__._ZN9rocsolver6v33100L12permute_swapIdiEEvT0_PT_S2_PS2_S2_, 82

	.type	__PRETTY_FUNCTION__._ZN9rocsolver6v33100L12permute_swapI19rocblas_complex_numIfEiEEvT0_PT_S4_PS4_S4_,@object ; @__PRETTY_FUNCTION__._ZN9rocsolver6v33100L12permute_swapI19rocblas_complex_numIfEiEEvT0_PT_S4_PS4_S4_
__PRETTY_FUNCTION__._ZN9rocsolver6v33100L12permute_swapI19rocblas_complex_numIfEiEEvT0_PT_S4_PS4_S4_:
	.asciz	"void rocsolver::permute_swap(const I, T *, I, I *, const I) [T = rocblas_complex_num<float>, I = int]"
	.size	__PRETTY_FUNCTION__._ZN9rocsolver6v33100L12permute_swapI19rocblas_complex_numIfEiEEvT0_PT_S4_PS4_S4_, 102

	.type	__PRETTY_FUNCTION__._ZN9rocsolver6v33100L12permute_swapI19rocblas_complex_numIdEiEEvT0_PT_S4_PS4_S4_,@object ; @__PRETTY_FUNCTION__._ZN9rocsolver6v33100L12permute_swapI19rocblas_complex_numIdEiEEvT0_PT_S4_PS4_S4_
__PRETTY_FUNCTION__._ZN9rocsolver6v33100L12permute_swapI19rocblas_complex_numIdEiEEvT0_PT_S4_PS4_S4_:
	.asciz	"void rocsolver::permute_swap(const I, T *, I, I *, const I) [T = rocblas_complex_num<double>, I = int]"
	.size	__PRETTY_FUNCTION__._ZN9rocsolver6v33100L12permute_swapI19rocblas_complex_numIdEiEEvT0_PT_S4_PS4_S4_, 103

	.type	__hip_cuid_13dbb928389c426e,@object ; @__hip_cuid_13dbb928389c426e
	.section	.bss,"aw",@nobits
	.globl	__hip_cuid_13dbb928389c426e
__hip_cuid_13dbb928389c426e:
	.byte	0                               ; 0x0
	.size	__hip_cuid_13dbb928389c426e, 1

	.ident	"AMD clang version 19.0.0git (https://github.com/RadeonOpenCompute/llvm-project roc-6.4.0 25133 c7fe45cf4b819c5991fe208aaa96edf142730f1d)"
	.section	".note.GNU-stack","",@progbits
	.addrsig
	.addrsig_sym __hip_cuid_13dbb928389c426e
	.amdgpu_metadata
---
amdhsa.kernels:
  - .args:
      - .address_space:  global
        .offset:         0
        .size:           8
        .value_kind:     global_buffer
      - .offset:         8
        .size:           4
        .value_kind:     by_value
      - .offset:         12
        .size:           4
        .value_kind:     by_value
      - .offset:         16
        .size:           4
        .value_kind:     by_value
      - .offset:         24
        .size:           4
        .value_kind:     hidden_block_count_x
      - .offset:         28
        .size:           4
        .value_kind:     hidden_block_count_y
      - .offset:         32
        .size:           4
        .value_kind:     hidden_block_count_z
      - .offset:         36
        .size:           2
        .value_kind:     hidden_group_size_x
      - .offset:         38
        .size:           2
        .value_kind:     hidden_group_size_y
      - .offset:         40
        .size:           2
        .value_kind:     hidden_group_size_z
      - .offset:         42
        .size:           2
        .value_kind:     hidden_remainder_x
      - .offset:         44
        .size:           2
        .value_kind:     hidden_remainder_y
      - .offset:         46
        .size:           2
        .value_kind:     hidden_remainder_z
      - .offset:         64
        .size:           8
        .value_kind:     hidden_global_offset_x
      - .offset:         72
        .size:           8
        .value_kind:     hidden_global_offset_y
      - .offset:         80
        .size:           8
        .value_kind:     hidden_global_offset_z
      - .offset:         88
        .size:           2
        .value_kind:     hidden_grid_dims
    .group_segment_fixed_size: 0
    .kernarg_segment_align: 8
    .kernarg_segment_size: 280
    .language:       OpenCL C
    .language_version:
      - 2
      - 0
    .max_flat_workgroup_size: 1024
    .name:           _ZN9rocsolver6v33100L10reset_infoIiiiEEvPT_T0_T1_S4_
    .private_segment_fixed_size: 0
    .sgpr_count:     18
    .sgpr_spill_count: 0
    .symbol:         _ZN9rocsolver6v33100L10reset_infoIiiiEEvPT_T0_T1_S4_.kd
    .uniform_work_group_size: 1
    .uses_dynamic_stack: false
    .vgpr_count:     6
    .vgpr_spill_count: 0
    .wavefront_size: 32
    .workgroup_processor_mode: 1
  - .args:
      - .address_space:  global
        .offset:         0
        .size:           8
        .value_kind:     global_buffer
      - .offset:         8
        .size:           8
        .value_kind:     by_value
      - .offset:         16
        .size:           4
        .value_kind:     by_value
      - .offset:         20
        .size:           4
        .value_kind:     by_value
      - .offset:         24
        .size:           4
        .value_kind:     hidden_block_count_x
      - .offset:         28
        .size:           4
        .value_kind:     hidden_block_count_y
      - .offset:         32
        .size:           4
        .value_kind:     hidden_block_count_z
      - .offset:         36
        .size:           2
        .value_kind:     hidden_group_size_x
      - .offset:         38
        .size:           2
        .value_kind:     hidden_group_size_y
      - .offset:         40
        .size:           2
        .value_kind:     hidden_group_size_z
      - .offset:         42
        .size:           2
        .value_kind:     hidden_remainder_x
      - .offset:         44
        .size:           2
        .value_kind:     hidden_remainder_y
      - .offset:         46
        .size:           2
        .value_kind:     hidden_remainder_z
      - .offset:         64
        .size:           8
        .value_kind:     hidden_global_offset_x
      - .offset:         72
        .size:           8
        .value_kind:     hidden_global_offset_y
      - .offset:         80
        .size:           8
        .value_kind:     hidden_global_offset_z
      - .offset:         88
        .size:           2
        .value_kind:     hidden_grid_dims
    .group_segment_fixed_size: 0
    .kernarg_segment_align: 8
    .kernarg_segment_size: 280
    .language:       OpenCL C
    .language_version:
      - 2
      - 0
    .max_flat_workgroup_size: 1024
    .name:           _ZN9rocsolver6v33100L16reset_batch_infoIfiiPfEEvT2_lT0_T1_
    .private_segment_fixed_size: 0
    .sgpr_count:     18
    .sgpr_spill_count: 0
    .symbol:         _ZN9rocsolver6v33100L16reset_batch_infoIfiiPfEEvT2_lT0_T1_.kd
    .uniform_work_group_size: 1
    .uses_dynamic_stack: false
    .vgpr_count:     3
    .vgpr_spill_count: 0
    .wavefront_size: 32
    .workgroup_processor_mode: 1
  - .args:
      - .offset:         0
        .size:           4
        .value_kind:     by_value
      - .offset:         4
        .size:           4
        .value_kind:     by_value
      - .offset:         8
        .size:           4
        .value_kind:     by_value
      - .address_space:  global
        .offset:         16
        .size:           8
        .value_kind:     global_buffer
      - .offset:         24
        .size:           8
        .value_kind:     by_value
      - .address_space:  global
        .offset:         32
        .size:           8
        .value_kind:     global_buffer
      - .address_space:  global
        .offset:         40
        .size:           8
        .value_kind:     global_buffer
      - .offset:         48
        .size:           8
        .value_kind:     by_value
    .group_segment_fixed_size: 0
    .kernarg_segment_align: 8
    .kernarg_segment_size: 56
    .language:       OpenCL C
    .language_version:
      - 2
      - 0
    .max_flat_workgroup_size: 1024
    .name:           _ZN9rocsolver6v33100L19stedcx_case1_kernelIfEEv15rocblas_erange_T_S3_PS3_lPiS4_l
    .private_segment_fixed_size: 0
    .sgpr_count:     19
    .sgpr_spill_count: 0
    .symbol:         _ZN9rocsolver6v33100L19stedcx_case1_kernelIfEEv15rocblas_erange_T_S3_PS3_lPiS4_l.kd
    .uniform_work_group_size: 1
    .uses_dynamic_stack: false
    .vgpr_count:     3
    .vgpr_spill_count: 0
    .wavefront_size: 32
    .workgroup_processor_mode: 1
  - .args:
      - .offset:         0
        .size:           4
        .value_kind:     by_value
      - .offset:         4
        .size:           4
        .value_kind:     by_value
      - .address_space:  global
        .offset:         8
        .size:           8
        .value_kind:     global_buffer
      - .offset:         16
        .size:           4
        .value_kind:     by_value
      - .offset:         20
        .size:           4
        .value_kind:     by_value
      - .offset:         24
        .size:           8
        .value_kind:     by_value
      - .offset:         32
        .size:           4
        .value_kind:     hidden_block_count_x
      - .offset:         36
        .size:           4
        .value_kind:     hidden_block_count_y
      - .offset:         40
        .size:           4
        .value_kind:     hidden_block_count_z
      - .offset:         44
        .size:           2
        .value_kind:     hidden_group_size_x
      - .offset:         46
        .size:           2
        .value_kind:     hidden_group_size_y
      - .offset:         48
        .size:           2
        .value_kind:     hidden_group_size_z
      - .offset:         50
        .size:           2
        .value_kind:     hidden_remainder_x
      - .offset:         52
        .size:           2
        .value_kind:     hidden_remainder_y
      - .offset:         54
        .size:           2
        .value_kind:     hidden_remainder_z
      - .offset:         72
        .size:           8
        .value_kind:     hidden_global_offset_x
      - .offset:         80
        .size:           8
        .value_kind:     hidden_global_offset_y
      - .offset:         88
        .size:           8
        .value_kind:     hidden_global_offset_z
      - .offset:         96
        .size:           2
        .value_kind:     hidden_grid_dims
    .group_segment_fixed_size: 0
    .kernarg_segment_align: 8
    .kernarg_segment_size: 288
    .language:       OpenCL C
    .language_version:
      - 2
      - 0
    .max_flat_workgroup_size: 1024
    .name:           _ZN9rocsolver6v33100L10init_identIfPfEEviiT0_iil
    .private_segment_fixed_size: 0
    .sgpr_count:     18
    .sgpr_spill_count: 0
    .symbol:         _ZN9rocsolver6v33100L10init_identIfPfEEviiT0_iil.kd
    .uniform_work_group_size: 1
    .uses_dynamic_stack: false
    .vgpr_count:     5
    .vgpr_spill_count: 0
    .wavefront_size: 32
    .workgroup_processor_mode: 1
  - .args:
      - .offset:         0
        .size:           4
        .value_kind:     by_value
      - .offset:         4
        .size:           4
        .value_kind:     by_value
      - .offset:         8
        .size:           4
        .value_kind:     by_value
      - .offset:         12
        .size:           4
        .value_kind:     by_value
      - .offset:         16
        .size:           4
        .value_kind:     by_value
      - .offset:         20
        .size:           4
        .value_kind:     by_value
      - .address_space:  global
        .offset:         24
        .size:           8
        .value_kind:     global_buffer
      - .offset:         32
        .size:           8
        .value_kind:     by_value
      - .address_space:  global
        .offset:         40
        .size:           8
        .value_kind:     global_buffer
      - .offset:         48
        .size:           8
        .value_kind:     by_value
      - .address_space:  global
        .offset:         56
        .size:           8
        .value_kind:     global_buffer
      - .offset:         64
        .size:           8
        .value_kind:     by_value
      - .address_space:  global
        .offset:         72
        .size:           8
        .value_kind:     global_buffer
      - .address_space:  global
        .offset:         80
        .size:           8
        .value_kind:     global_buffer
      - .offset:         88
        .size:           4
        .value_kind:     by_value
      - .offset:         92
        .size:           4
        .value_kind:     by_value
      - .offset:         96
        .size:           4
        .value_kind:     hidden_block_count_x
      - .offset:         100
        .size:           4
        .value_kind:     hidden_block_count_y
      - .offset:         104
        .size:           4
        .value_kind:     hidden_block_count_z
      - .offset:         108
        .size:           2
        .value_kind:     hidden_group_size_x
      - .offset:         110
        .size:           2
        .value_kind:     hidden_group_size_y
      - .offset:         112
        .size:           2
        .value_kind:     hidden_group_size_z
      - .offset:         114
        .size:           2
        .value_kind:     hidden_remainder_x
      - .offset:         116
        .size:           2
        .value_kind:     hidden_remainder_y
      - .offset:         118
        .size:           2
        .value_kind:     hidden_remainder_z
      - .offset:         136
        .size:           8
        .value_kind:     hidden_global_offset_x
      - .offset:         144
        .size:           8
        .value_kind:     hidden_global_offset_y
      - .offset:         152
        .size:           8
        .value_kind:     hidden_global_offset_z
      - .offset:         160
        .size:           2
        .value_kind:     hidden_grid_dims
    .group_segment_fixed_size: 2048
    .kernarg_segment_align: 8
    .kernarg_segment_size: 352
    .language:       OpenCL C
    .language_version:
      - 2
      - 0
    .max_flat_workgroup_size: 256
    .name:           _ZN9rocsolver6v33100L19stedcx_split_kernelIfEEv15rocblas_erange_iT_S3_iiPS3_lS4_lS4_lPiS4_S3_S3_
    .private_segment_fixed_size: 0
    .sgpr_count:     58
    .sgpr_spill_count: 0
    .symbol:         _ZN9rocsolver6v33100L19stedcx_split_kernelIfEEv15rocblas_erange_iT_S3_iiPS3_lS4_lS4_lPiS4_S3_S3_.kd
    .uniform_work_group_size: 1
    .uses_dynamic_stack: false
    .vgpr_count:     22
    .vgpr_spill_count: 0
    .wavefront_size: 32
    .workgroup_processor_mode: 1
  - .args:
      - .offset:         0
        .size:           4
        .value_kind:     by_value
      - .address_space:  global
        .offset:         8
        .size:           8
        .value_kind:     global_buffer
      - .offset:         16
        .size:           8
        .value_kind:     by_value
      - .address_space:  global
        .offset:         24
        .size:           8
        .value_kind:     global_buffer
      - .offset:         32
        .size:           8
        .value_kind:     by_value
      - .address_space:  global
        .offset:         40
        .size:           8
        .value_kind:     global_buffer
    .group_segment_fixed_size: 0
    .kernarg_segment_align: 8
    .kernarg_segment_size: 48
    .language:       OpenCL C
    .language_version:
      - 2
      - 0
    .max_flat_workgroup_size: 512
    .name:           _ZN9rocsolver6v33100L20stedcx_divide_kernelIfEEviPT_lS3_lPi
    .private_segment_fixed_size: 0
    .sgpr_count:     28
    .sgpr_spill_count: 0
    .symbol:         _ZN9rocsolver6v33100L20stedcx_divide_kernelIfEEviPT_lS3_lPi.kd
    .uniform_work_group_size: 1
    .uses_dynamic_stack: false
    .vgpr_count:     17
    .vgpr_spill_count: 0
    .wavefront_size: 32
    .workgroup_processor_mode: 1
  - .args:
      - .offset:         0
        .size:           4
        .value_kind:     by_value
      - .address_space:  global
        .offset:         8
        .size:           8
        .value_kind:     global_buffer
      - .offset:         16
        .size:           8
        .value_kind:     by_value
      - .address_space:  global
        .offset:         24
        .size:           8
        .value_kind:     global_buffer
      - .offset:         32
        .size:           8
        .value_kind:     by_value
      - .address_space:  global
        .offset:         40
        .size:           8
        .value_kind:     global_buffer
      - .offset:         48
        .size:           4
        .value_kind:     by_value
      - .offset:         52
        .size:           4
        .value_kind:     by_value
      - .offset:         56
        .size:           8
        .value_kind:     by_value
      - .address_space:  global
        .offset:         64
        .size:           8
        .value_kind:     global_buffer
      - .address_space:  global
        .offset:         72
        .size:           8
        .value_kind:     global_buffer
      - .address_space:  global
        .offset:         80
        .size:           8
        .value_kind:     global_buffer
      - .offset:         88
        .size:           4
        .value_kind:     by_value
      - .offset:         92
        .size:           4
        .value_kind:     by_value
      - .offset:         96
        .size:           4
        .value_kind:     by_value
      - .offset:         104
        .size:           4
        .value_kind:     hidden_block_count_x
      - .offset:         108
        .size:           4
        .value_kind:     hidden_block_count_y
      - .offset:         112
        .size:           4
        .value_kind:     hidden_block_count_z
      - .offset:         116
        .size:           2
        .value_kind:     hidden_group_size_x
      - .offset:         118
        .size:           2
        .value_kind:     hidden_group_size_y
      - .offset:         120
        .size:           2
        .value_kind:     hidden_group_size_z
      - .offset:         122
        .size:           2
        .value_kind:     hidden_remainder_x
      - .offset:         124
        .size:           2
        .value_kind:     hidden_remainder_y
      - .offset:         126
        .size:           2
        .value_kind:     hidden_remainder_z
      - .offset:         144
        .size:           8
        .value_kind:     hidden_global_offset_x
      - .offset:         152
        .size:           8
        .value_kind:     hidden_global_offset_y
      - .offset:         160
        .size:           8
        .value_kind:     hidden_global_offset_z
      - .offset:         168
        .size:           2
        .value_kind:     hidden_grid_dims
    .group_segment_fixed_size: 36
    .kernarg_segment_align: 8
    .kernarg_segment_size: 360
    .language:       OpenCL C
    .language_version:
      - 2
      - 0
    .max_flat_workgroup_size: 512
    .name:           _ZN9rocsolver6v33100L19stedcx_solve_kernelIfEEviPT_lS3_lS3_iilPiS3_S4_S2_S2_S2_
    .private_segment_fixed_size: 0
    .sgpr_count:     107
    .sgpr_spill_count: 0
    .symbol:         _ZN9rocsolver6v33100L19stedcx_solve_kernelIfEEviPT_lS3_lS3_iilPiS3_S4_S2_S2_S2_.kd
    .uniform_work_group_size: 1
    .uses_dynamic_stack: false
    .vgpr_count:     70
    .vgpr_spill_count: 0
    .wavefront_size: 32
    .workgroup_processor_mode: 1
  - .args:
      - .offset:         0
        .size:           4
        .value_kind:     by_value
      - .offset:         4
        .size:           4
        .value_kind:     by_value
      - .address_space:  global
        .offset:         8
        .size:           8
        .value_kind:     global_buffer
      - .offset:         16
        .size:           8
        .value_kind:     by_value
      - .address_space:  global
        .offset:         24
        .size:           8
        .value_kind:     global_buffer
      - .offset:         32
        .size:           8
        .value_kind:     by_value
      - .address_space:  global
        .offset:         40
        .size:           8
        .value_kind:     global_buffer
      - .offset:         48
        .size:           4
        .value_kind:     by_value
      - .offset:         52
        .size:           4
        .value_kind:     by_value
      - .offset:         56
        .size:           8
        .value_kind:     by_value
      - .address_space:  global
        .offset:         64
        .size:           8
        .value_kind:     global_buffer
      - .address_space:  global
        .offset:         72
        .size:           8
        .value_kind:     global_buffer
      - .address_space:  global
        .offset:         80
        .size:           8
        .value_kind:     global_buffer
      - .offset:         88
        .size:           4
        .value_kind:     by_value
      - .offset:         96
        .size:           4
        .value_kind:     hidden_block_count_x
      - .offset:         100
        .size:           4
        .value_kind:     hidden_block_count_y
      - .offset:         104
        .size:           4
        .value_kind:     hidden_block_count_z
      - .offset:         108
        .size:           2
        .value_kind:     hidden_group_size_x
      - .offset:         110
        .size:           2
        .value_kind:     hidden_group_size_y
      - .offset:         112
        .size:           2
        .value_kind:     hidden_group_size_z
      - .offset:         114
        .size:           2
        .value_kind:     hidden_remainder_x
      - .offset:         116
        .size:           2
        .value_kind:     hidden_remainder_y
      - .offset:         118
        .size:           2
        .value_kind:     hidden_remainder_z
      - .offset:         136
        .size:           8
        .value_kind:     hidden_global_offset_x
      - .offset:         144
        .size:           8
        .value_kind:     hidden_global_offset_y
      - .offset:         152
        .size:           8
        .value_kind:     hidden_global_offset_z
      - .offset:         160
        .size:           2
        .value_kind:     hidden_grid_dims
      - .offset:         216
        .size:           4
        .value_kind:     hidden_dynamic_lds_size
    .group_segment_fixed_size: 0
    .kernarg_segment_align: 8
    .kernarg_segment_size: 352
    .language:       OpenCL C
    .language_version:
      - 2
      - 0
    .max_flat_workgroup_size: 512
    .name:           _ZN9rocsolver6v33100L26stedcx_mergePrepare_kernelIfEEviiPT_lS3_lS3_iilS3_S3_PiS2_
    .private_segment_fixed_size: 0
    .sgpr_count:     72
    .sgpr_spill_count: 0
    .symbol:         _ZN9rocsolver6v33100L26stedcx_mergePrepare_kernelIfEEviiPT_lS3_lS3_iilS3_S3_PiS2_.kd
    .uniform_work_group_size: 1
    .uses_dynamic_stack: false
    .vgpr_count:     33
    .vgpr_spill_count: 0
    .wavefront_size: 32
    .workgroup_processor_mode: 1
  - .args:
      - .offset:         0
        .size:           4
        .value_kind:     by_value
      - .offset:         4
        .size:           4
        .value_kind:     by_value
      - .address_space:  global
        .offset:         8
        .size:           8
        .value_kind:     global_buffer
      - .offset:         16
        .size:           8
        .value_kind:     by_value
      - .address_space:  global
        .offset:         24
        .size:           8
        .value_kind:     global_buffer
      - .offset:         32
        .size:           8
        .value_kind:     by_value
      - .address_space:  global
        .offset:         40
        .size:           8
        .value_kind:     global_buffer
      - .address_space:  global
        .offset:         48
        .size:           8
        .value_kind:     global_buffer
      - .address_space:  global
        .offset:         56
        .size:           8
        .value_kind:     global_buffer
      - .offset:         64
        .size:           4
        .value_kind:     by_value
      - .offset:         68
        .size:           4
        .value_kind:     by_value
      - .offset:         72
        .size:           4
        .value_kind:     by_value
      - .offset:         80
        .size:           4
        .value_kind:     hidden_block_count_x
      - .offset:         84
        .size:           4
        .value_kind:     hidden_block_count_y
      - .offset:         88
        .size:           4
        .value_kind:     hidden_block_count_z
      - .offset:         92
        .size:           2
        .value_kind:     hidden_group_size_x
      - .offset:         94
        .size:           2
        .value_kind:     hidden_group_size_y
      - .offset:         96
        .size:           2
        .value_kind:     hidden_group_size_z
      - .offset:         98
        .size:           2
        .value_kind:     hidden_remainder_x
      - .offset:         100
        .size:           2
        .value_kind:     hidden_remainder_y
      - .offset:         102
        .size:           2
        .value_kind:     hidden_remainder_z
      - .offset:         120
        .size:           8
        .value_kind:     hidden_global_offset_x
      - .offset:         128
        .size:           8
        .value_kind:     hidden_global_offset_y
      - .offset:         136
        .size:           8
        .value_kind:     hidden_global_offset_z
      - .offset:         144
        .size:           2
        .value_kind:     hidden_grid_dims
    .group_segment_fixed_size: 0
    .kernarg_segment_align: 8
    .kernarg_segment_size: 336
    .language:       OpenCL C
    .language_version:
      - 2
      - 0
    .max_flat_workgroup_size: 512
    .name:           _ZN9rocsolver6v33100L25stedcx_mergeValues_kernelIfEEviiPT_lS3_lS3_S3_PiS2_S2_S2_
    .private_segment_fixed_size: 0
    .sgpr_count:     101
    .sgpr_spill_count: 0
    .symbol:         _ZN9rocsolver6v33100L25stedcx_mergeValues_kernelIfEEviiPT_lS3_lS3_S3_PiS2_S2_S2_.kd
    .uniform_work_group_size: 1
    .uses_dynamic_stack: false
    .vgpr_count:     50
    .vgpr_spill_count: 0
    .wavefront_size: 32
    .workgroup_processor_mode: 1
  - .args:
      - .offset:         0
        .size:           4
        .value_kind:     by_value
      - .offset:         4
        .size:           4
        .value_kind:     by_value
      - .address_space:  global
        .offset:         8
        .size:           8
        .value_kind:     global_buffer
      - .offset:         16
        .size:           8
        .value_kind:     by_value
      - .address_space:  global
        .offset:         24
        .size:           8
        .value_kind:     global_buffer
      - .offset:         32
        .size:           8
        .value_kind:     by_value
      - .address_space:  global
        .offset:         40
        .size:           8
        .value_kind:     global_buffer
      - .offset:         48
        .size:           4
        .value_kind:     by_value
      - .offset:         52
        .size:           4
        .value_kind:     by_value
      - .offset:         56
        .size:           8
        .value_kind:     by_value
      - .address_space:  global
        .offset:         64
        .size:           8
        .value_kind:     global_buffer
      - .address_space:  global
        .offset:         72
        .size:           8
        .value_kind:     global_buffer
      - .address_space:  global
        .offset:         80
        .size:           8
        .value_kind:     global_buffer
      - .offset:         88
        .size:           4
        .value_kind:     hidden_block_count_x
      - .offset:         92
        .size:           4
        .value_kind:     hidden_block_count_y
      - .offset:         96
        .size:           4
        .value_kind:     hidden_block_count_z
      - .offset:         100
        .size:           2
        .value_kind:     hidden_group_size_x
      - .offset:         102
        .size:           2
        .value_kind:     hidden_group_size_y
      - .offset:         104
        .size:           2
        .value_kind:     hidden_group_size_z
      - .offset:         106
        .size:           2
        .value_kind:     hidden_remainder_x
      - .offset:         108
        .size:           2
        .value_kind:     hidden_remainder_y
      - .offset:         110
        .size:           2
        .value_kind:     hidden_remainder_z
      - .offset:         128
        .size:           8
        .value_kind:     hidden_global_offset_x
      - .offset:         136
        .size:           8
        .value_kind:     hidden_global_offset_y
      - .offset:         144
        .size:           8
        .value_kind:     hidden_global_offset_z
      - .offset:         152
        .size:           2
        .value_kind:     hidden_grid_dims
      - .offset:         208
        .size:           4
        .value_kind:     hidden_dynamic_lds_size
    .group_segment_fixed_size: 0
    .kernarg_segment_align: 8
    .kernarg_segment_size: 344
    .language:       OpenCL C
    .language_version:
      - 2
      - 0
    .max_flat_workgroup_size: 512
    .name:           _ZN9rocsolver6v33100L26stedcx_mergeVectors_kernelILb0EfEEviiPT0_lS3_lS3_iilS3_S3_Pi
    .private_segment_fixed_size: 0
    .sgpr_count:     57
    .sgpr_spill_count: 0
    .symbol:         _ZN9rocsolver6v33100L26stedcx_mergeVectors_kernelILb0EfEEviiPT0_lS3_lS3_iilS3_S3_Pi.kd
    .uniform_work_group_size: 1
    .uses_dynamic_stack: false
    .vgpr_count:     23
    .vgpr_spill_count: 0
    .wavefront_size: 32
    .workgroup_processor_mode: 1
  - .args:
      - .offset:         0
        .size:           4
        .value_kind:     by_value
      - .offset:         4
        .size:           4
        .value_kind:     by_value
      - .address_space:  global
        .offset:         8
        .size:           8
        .value_kind:     global_buffer
      - .offset:         16
        .size:           8
        .value_kind:     by_value
      - .address_space:  global
        .offset:         24
        .size:           8
        .value_kind:     global_buffer
      - .offset:         32
        .size:           4
        .value_kind:     by_value
      - .offset:         36
        .size:           4
        .value_kind:     by_value
      - .offset:         40
        .size:           8
        .value_kind:     by_value
      - .address_space:  global
        .offset:         48
        .size:           8
        .value_kind:     global_buffer
      - .address_space:  global
        .offset:         56
        .size:           8
        .value_kind:     global_buffer
      - .address_space:  global
        .offset:         64
        .size:           8
        .value_kind:     global_buffer
      - .offset:         72
        .size:           4
        .value_kind:     hidden_block_count_x
      - .offset:         76
        .size:           4
        .value_kind:     hidden_block_count_y
      - .offset:         80
        .size:           4
        .value_kind:     hidden_block_count_z
      - .offset:         84
        .size:           2
        .value_kind:     hidden_group_size_x
      - .offset:         86
        .size:           2
        .value_kind:     hidden_group_size_y
      - .offset:         88
        .size:           2
        .value_kind:     hidden_group_size_z
      - .offset:         90
        .size:           2
        .value_kind:     hidden_remainder_x
      - .offset:         92
        .size:           2
        .value_kind:     hidden_remainder_y
      - .offset:         94
        .size:           2
        .value_kind:     hidden_remainder_z
      - .offset:         112
        .size:           8
        .value_kind:     hidden_global_offset_x
      - .offset:         120
        .size:           8
        .value_kind:     hidden_global_offset_y
      - .offset:         128
        .size:           8
        .value_kind:     hidden_global_offset_z
      - .offset:         136
        .size:           2
        .value_kind:     hidden_grid_dims
    .group_segment_fixed_size: 0
    .kernarg_segment_align: 8
    .kernarg_segment_size: 328
    .language:       OpenCL C
    .language_version:
      - 2
      - 0
    .max_flat_workgroup_size: 512
    .name:           _ZN9rocsolver6v33100L25stedcx_mergeUpdate_kernelIfEEviiPT_lS3_iilS3_S3_Pi
    .private_segment_fixed_size: 0
    .sgpr_count:     50
    .sgpr_spill_count: 0
    .symbol:         _ZN9rocsolver6v33100L25stedcx_mergeUpdate_kernelIfEEviiPT_lS3_iilS3_S3_Pi.kd
    .uniform_work_group_size: 1
    .uses_dynamic_stack: false
    .vgpr_count:     12
    .vgpr_spill_count: 0
    .wavefront_size: 32
    .workgroup_processor_mode: 1
  - .args:
      - .offset:         0
        .size:           4
        .value_kind:     by_value
      - .offset:         4
        .size:           4
        .value_kind:     by_value
      - .offset:         8
        .size:           4
        .value_kind:     by_value
      - .offset:         12
        .size:           4
        .value_kind:     by_value
      - .address_space:  global
        .offset:         16
        .size:           8
        .value_kind:     global_buffer
      - .offset:         24
        .size:           8
        .value_kind:     by_value
      - .address_space:  global
        .offset:         32
        .size:           8
        .value_kind:     global_buffer
      - .address_space:  global
        .offset:         40
        .size:           8
        .value_kind:     global_buffer
      - .offset:         48
        .size:           8
        .value_kind:     by_value
      - .address_space:  global
        .offset:         56
        .size:           8
        .value_kind:     global_buffer
      - .offset:         64
        .size:           4
        .value_kind:     by_value
      - .offset:         72
        .size:           8
        .value_kind:     by_value
      - .offset:         80
        .size:           4
        .value_kind:     by_value
      - .address_space:  global
        .offset:         88
        .size:           8
        .value_kind:     global_buffer
      - .address_space:  global
        .offset:         96
        .size:           8
        .value_kind:     global_buffer
      - .offset:         104
        .size:           4
        .value_kind:     by_value
      - .offset:         112
        .size:           4
        .value_kind:     hidden_block_count_x
      - .offset:         116
        .size:           4
        .value_kind:     hidden_block_count_y
      - .offset:         120
        .size:           4
        .value_kind:     hidden_block_count_z
      - .offset:         124
        .size:           2
        .value_kind:     hidden_group_size_x
      - .offset:         126
        .size:           2
        .value_kind:     hidden_group_size_y
      - .offset:         128
        .size:           2
        .value_kind:     hidden_group_size_z
      - .offset:         130
        .size:           2
        .value_kind:     hidden_remainder_x
      - .offset:         132
        .size:           2
        .value_kind:     hidden_remainder_y
      - .offset:         134
        .size:           2
        .value_kind:     hidden_remainder_z
      - .offset:         152
        .size:           8
        .value_kind:     hidden_global_offset_x
      - .offset:         160
        .size:           8
        .value_kind:     hidden_global_offset_y
      - .offset:         168
        .size:           8
        .value_kind:     hidden_global_offset_z
      - .offset:         176
        .size:           2
        .value_kind:     hidden_grid_dims
    .group_segment_fixed_size: 0
    .kernarg_segment_align: 8
    .kernarg_segment_size: 368
    .language:       OpenCL C
    .language_version:
      - 2
      - 0
    .max_flat_workgroup_size: 512
    .name:           _ZN9rocsolver6v33100L23stedcx_synthesis_kernelIfEEv15rocblas_erange_iiiPT_lPiS4_lS4_iliS5_S4_S3_
    .private_segment_fixed_size: 0
    .sgpr_count:     56
    .sgpr_spill_count: 0
    .symbol:         _ZN9rocsolver6v33100L23stedcx_synthesis_kernelIfEEv15rocblas_erange_iiiPT_lPiS4_lS4_iliS5_S4_S3_.kd
    .uniform_work_group_size: 1
    .uses_dynamic_stack: false
    .vgpr_count:     13
    .vgpr_spill_count: 0
    .wavefront_size: 32
    .workgroup_processor_mode: 1
  - .args:
      - .offset:         0
        .size:           4
        .value_kind:     by_value
      - .offset:         4
        .size:           4
        .value_kind:     by_value
      - .offset:         8
        .size:           4
        .value_kind:     by_value
      - .address_space:  global
        .offset:         16
        .size:           8
        .value_kind:     global_buffer
      - .offset:         24
        .size:           4
        .value_kind:     by_value
      - .offset:         28
        .size:           4
        .value_kind:     by_value
      - .offset:         32
        .size:           8
        .value_kind:     by_value
      - .address_space:  global
        .offset:         40
        .size:           8
        .value_kind:     global_buffer
      - .offset:         48
        .size:           1
        .value_kind:     by_value
      - .offset:         52
        .size:           4
        .value_kind:     by_value
      - .offset:         56
        .size:           4
        .value_kind:     by_value
      - .offset:         64
        .size:           4
        .value_kind:     hidden_block_count_x
      - .offset:         68
        .size:           4
        .value_kind:     hidden_block_count_y
      - .offset:         72
        .size:           4
        .value_kind:     hidden_block_count_z
      - .offset:         76
        .size:           2
        .value_kind:     hidden_group_size_x
      - .offset:         78
        .size:           2
        .value_kind:     hidden_group_size_y
      - .offset:         80
        .size:           2
        .value_kind:     hidden_group_size_z
      - .offset:         82
        .size:           2
        .value_kind:     hidden_remainder_x
      - .offset:         84
        .size:           2
        .value_kind:     hidden_remainder_y
      - .offset:         86
        .size:           2
        .value_kind:     hidden_remainder_z
      - .offset:         104
        .size:           8
        .value_kind:     hidden_global_offset_x
      - .offset:         112
        .size:           8
        .value_kind:     hidden_global_offset_y
      - .offset:         120
        .size:           8
        .value_kind:     hidden_global_offset_z
      - .offset:         128
        .size:           2
        .value_kind:     hidden_grid_dims
    .group_segment_fixed_size: 0
    .kernarg_segment_align: 8
    .kernarg_segment_size: 320
    .language:       OpenCL C
    .language_version:
      - 2
      - 0
    .max_flat_workgroup_size: 1024
    .name:           _ZN9rocsolver6v33100L8copy_matIfPfNS0_7no_maskEEEvNS0_17copymat_directionEiiT0_iilPT_T1_13rocblas_fill_17rocblas_diagonal_
    .private_segment_fixed_size: 0
    .sgpr_count:     20
    .sgpr_spill_count: 0
    .symbol:         _ZN9rocsolver6v33100L8copy_matIfPfNS0_7no_maskEEEvNS0_17copymat_directionEiiT0_iilPT_T1_13rocblas_fill_17rocblas_diagonal_.kd
    .uniform_work_group_size: 1
    .uses_dynamic_stack: false
    .vgpr_count:     6
    .vgpr_spill_count: 0
    .wavefront_size: 32
    .workgroup_processor_mode: 1
  - .args:
      - .offset:         0
        .size:           4
        .value_kind:     by_value
      - .address_space:  global
        .offset:         8
        .size:           8
        .value_kind:     global_buffer
      - .offset:         16
        .size:           8
        .value_kind:     by_value
      - .address_space:  global
        .offset:         24
        .size:           8
        .value_kind:     global_buffer
      - .offset:         32
        .size:           4
        .value_kind:     by_value
      - .offset:         36
        .size:           4
        .value_kind:     by_value
      - .offset:         40
        .size:           8
        .value_kind:     by_value
      - .offset:         48
        .size:           4
        .value_kind:     by_value
      - .address_space:  global
        .offset:         56
        .size:           8
        .value_kind:     global_buffer
      - .address_space:  global
        .offset:         64
        .size:           8
        .value_kind:     global_buffer
      - .offset:         72
        .size:           4
        .value_kind:     hidden_block_count_x
      - .offset:         76
        .size:           4
        .value_kind:     hidden_block_count_y
      - .offset:         80
        .size:           4
        .value_kind:     hidden_block_count_z
      - .offset:         84
        .size:           2
        .value_kind:     hidden_group_size_x
      - .offset:         86
        .size:           2
        .value_kind:     hidden_group_size_y
      - .offset:         88
        .size:           2
        .value_kind:     hidden_group_size_z
      - .offset:         90
        .size:           2
        .value_kind:     hidden_remainder_x
      - .offset:         92
        .size:           2
        .value_kind:     hidden_remainder_y
      - .offset:         94
        .size:           2
        .value_kind:     hidden_remainder_z
      - .offset:         112
        .size:           8
        .value_kind:     hidden_global_offset_x
      - .offset:         120
        .size:           8
        .value_kind:     hidden_global_offset_y
      - .offset:         128
        .size:           8
        .value_kind:     hidden_global_offset_z
      - .offset:         136
        .size:           2
        .value_kind:     hidden_grid_dims
      - .offset:         152
        .size:           8
        .value_kind:     hidden_hostcall_buffer
    .group_segment_fixed_size: 0
    .kernarg_segment_align: 8
    .kernarg_segment_size: 328
    .language:       OpenCL C
    .language_version:
      - 2
      - 0
    .max_flat_workgroup_size: 256
    .name:           _ZN9rocsolver6v33100L11stedcx_sortIffPfEEviPT0_lT1_iiliPiS6_
    .private_segment_fixed_size: 64
    .sgpr_count:     58
    .sgpr_spill_count: 0
    .symbol:         _ZN9rocsolver6v33100L11stedcx_sortIffPfEEviPT0_lT1_iiliPiS6_.kd
    .uniform_work_group_size: 1
    .uses_dynamic_stack: false
    .vgpr_count:     51
    .vgpr_spill_count: 0
    .wavefront_size: 32
    .workgroup_processor_mode: 1
  - .args:
      - .address_space:  global
        .offset:         0
        .size:           8
        .value_kind:     global_buffer
      - .offset:         8
        .size:           8
        .value_kind:     by_value
      - .offset:         16
        .size:           4
        .value_kind:     by_value
      - .offset:         20
        .size:           4
        .value_kind:     by_value
      - .offset:         24
        .size:           4
        .value_kind:     hidden_block_count_x
      - .offset:         28
        .size:           4
        .value_kind:     hidden_block_count_y
      - .offset:         32
        .size:           4
        .value_kind:     hidden_block_count_z
      - .offset:         36
        .size:           2
        .value_kind:     hidden_group_size_x
      - .offset:         38
        .size:           2
        .value_kind:     hidden_group_size_y
      - .offset:         40
        .size:           2
        .value_kind:     hidden_group_size_z
      - .offset:         42
        .size:           2
        .value_kind:     hidden_remainder_x
      - .offset:         44
        .size:           2
        .value_kind:     hidden_remainder_y
      - .offset:         46
        .size:           2
        .value_kind:     hidden_remainder_z
      - .offset:         64
        .size:           8
        .value_kind:     hidden_global_offset_x
      - .offset:         72
        .size:           8
        .value_kind:     hidden_global_offset_y
      - .offset:         80
        .size:           8
        .value_kind:     hidden_global_offset_z
      - .offset:         88
        .size:           2
        .value_kind:     hidden_grid_dims
    .group_segment_fixed_size: 0
    .kernarg_segment_align: 8
    .kernarg_segment_size: 280
    .language:       OpenCL C
    .language_version:
      - 2
      - 0
    .max_flat_workgroup_size: 1024
    .name:           _ZN9rocsolver6v33100L16reset_batch_infoIdiiPdEEvT2_lT0_T1_
    .private_segment_fixed_size: 0
    .sgpr_count:     18
    .sgpr_spill_count: 0
    .symbol:         _ZN9rocsolver6v33100L16reset_batch_infoIdiiPdEEvT2_lT0_T1_.kd
    .uniform_work_group_size: 1
    .uses_dynamic_stack: false
    .vgpr_count:     5
    .vgpr_spill_count: 0
    .wavefront_size: 32
    .workgroup_processor_mode: 1
  - .args:
      - .offset:         0
        .size:           4
        .value_kind:     by_value
      - .offset:         8
        .size:           8
        .value_kind:     by_value
      - .offset:         16
        .size:           8
        .value_kind:     by_value
      - .address_space:  global
        .offset:         24
        .size:           8
        .value_kind:     global_buffer
      - .offset:         32
        .size:           8
        .value_kind:     by_value
      - .address_space:  global
        .offset:         40
        .size:           8
        .value_kind:     global_buffer
      - .address_space:  global
        .offset:         48
        .size:           8
        .value_kind:     global_buffer
      - .offset:         56
        .size:           8
        .value_kind:     by_value
    .group_segment_fixed_size: 0
    .kernarg_segment_align: 8
    .kernarg_segment_size: 64
    .language:       OpenCL C
    .language_version:
      - 2
      - 0
    .max_flat_workgroup_size: 1024
    .name:           _ZN9rocsolver6v33100L19stedcx_case1_kernelIdEEv15rocblas_erange_T_S3_PS3_lPiS4_l
    .private_segment_fixed_size: 0
    .sgpr_count:     19
    .sgpr_spill_count: 0
    .symbol:         _ZN9rocsolver6v33100L19stedcx_case1_kernelIdEEv15rocblas_erange_T_S3_PS3_lPiS4_l.kd
    .uniform_work_group_size: 1
    .uses_dynamic_stack: false
    .vgpr_count:     4
    .vgpr_spill_count: 0
    .wavefront_size: 32
    .workgroup_processor_mode: 1
  - .args:
      - .offset:         0
        .size:           4
        .value_kind:     by_value
      - .offset:         4
        .size:           4
        .value_kind:     by_value
      - .address_space:  global
        .offset:         8
        .size:           8
        .value_kind:     global_buffer
      - .offset:         16
        .size:           4
        .value_kind:     by_value
      - .offset:         20
        .size:           4
        .value_kind:     by_value
      - .offset:         24
        .size:           8
        .value_kind:     by_value
      - .offset:         32
        .size:           4
        .value_kind:     hidden_block_count_x
      - .offset:         36
        .size:           4
        .value_kind:     hidden_block_count_y
      - .offset:         40
        .size:           4
        .value_kind:     hidden_block_count_z
      - .offset:         44
        .size:           2
        .value_kind:     hidden_group_size_x
      - .offset:         46
        .size:           2
        .value_kind:     hidden_group_size_y
      - .offset:         48
        .size:           2
        .value_kind:     hidden_group_size_z
      - .offset:         50
        .size:           2
        .value_kind:     hidden_remainder_x
      - .offset:         52
        .size:           2
        .value_kind:     hidden_remainder_y
      - .offset:         54
        .size:           2
        .value_kind:     hidden_remainder_z
      - .offset:         72
        .size:           8
        .value_kind:     hidden_global_offset_x
      - .offset:         80
        .size:           8
        .value_kind:     hidden_global_offset_y
      - .offset:         88
        .size:           8
        .value_kind:     hidden_global_offset_z
      - .offset:         96
        .size:           2
        .value_kind:     hidden_grid_dims
    .group_segment_fixed_size: 0
    .kernarg_segment_align: 8
    .kernarg_segment_size: 288
    .language:       OpenCL C
    .language_version:
      - 2
      - 0
    .max_flat_workgroup_size: 1024
    .name:           _ZN9rocsolver6v33100L10init_identIdPdEEviiT0_iil
    .private_segment_fixed_size: 0
    .sgpr_count:     18
    .sgpr_spill_count: 0
    .symbol:         _ZN9rocsolver6v33100L10init_identIdPdEEviiT0_iil.kd
    .uniform_work_group_size: 1
    .uses_dynamic_stack: false
    .vgpr_count:     6
    .vgpr_spill_count: 0
    .wavefront_size: 32
    .workgroup_processor_mode: 1
  - .args:
      - .offset:         0
        .size:           4
        .value_kind:     by_value
      - .offset:         4
        .size:           4
        .value_kind:     by_value
      - .offset:         8
        .size:           8
        .value_kind:     by_value
      - .offset:         16
        .size:           8
        .value_kind:     by_value
      - .offset:         24
        .size:           4
        .value_kind:     by_value
      - .offset:         28
        .size:           4
        .value_kind:     by_value
      - .address_space:  global
        .offset:         32
        .size:           8
        .value_kind:     global_buffer
      - .offset:         40
        .size:           8
        .value_kind:     by_value
      - .address_space:  global
        .offset:         48
        .size:           8
        .value_kind:     global_buffer
      - .offset:         56
        .size:           8
        .value_kind:     by_value
      - .address_space:  global
        .offset:         64
        .size:           8
        .value_kind:     global_buffer
      - .offset:         72
        .size:           8
        .value_kind:     by_value
      - .address_space:  global
        .offset:         80
        .size:           8
        .value_kind:     global_buffer
      - .address_space:  global
        .offset:         88
        .size:           8
        .value_kind:     global_buffer
      - .offset:         96
        .size:           8
        .value_kind:     by_value
      - .offset:         104
        .size:           8
        .value_kind:     by_value
      - .offset:         112
        .size:           4
        .value_kind:     hidden_block_count_x
      - .offset:         116
        .size:           4
        .value_kind:     hidden_block_count_y
      - .offset:         120
        .size:           4
        .value_kind:     hidden_block_count_z
      - .offset:         124
        .size:           2
        .value_kind:     hidden_group_size_x
      - .offset:         126
        .size:           2
        .value_kind:     hidden_group_size_y
      - .offset:         128
        .size:           2
        .value_kind:     hidden_group_size_z
      - .offset:         130
        .size:           2
        .value_kind:     hidden_remainder_x
      - .offset:         132
        .size:           2
        .value_kind:     hidden_remainder_y
      - .offset:         134
        .size:           2
        .value_kind:     hidden_remainder_z
      - .offset:         152
        .size:           8
        .value_kind:     hidden_global_offset_x
      - .offset:         160
        .size:           8
        .value_kind:     hidden_global_offset_y
      - .offset:         168
        .size:           8
        .value_kind:     hidden_global_offset_z
      - .offset:         176
        .size:           2
        .value_kind:     hidden_grid_dims
    .group_segment_fixed_size: 3072
    .kernarg_segment_align: 8
    .kernarg_segment_size: 368
    .language:       OpenCL C
    .language_version:
      - 2
      - 0
    .max_flat_workgroup_size: 256
    .name:           _ZN9rocsolver6v33100L19stedcx_split_kernelIdEEv15rocblas_erange_iT_S3_iiPS3_lS4_lS4_lPiS4_S3_S3_
    .private_segment_fixed_size: 0
    .sgpr_count:     65
    .sgpr_spill_count: 0
    .symbol:         _ZN9rocsolver6v33100L19stedcx_split_kernelIdEEv15rocblas_erange_iT_S3_iiPS3_lS4_lS4_lPiS4_S3_S3_.kd
    .uniform_work_group_size: 1
    .uses_dynamic_stack: false
    .vgpr_count:     27
    .vgpr_spill_count: 0
    .wavefront_size: 32
    .workgroup_processor_mode: 1
  - .args:
      - .offset:         0
        .size:           4
        .value_kind:     by_value
      - .address_space:  global
        .offset:         8
        .size:           8
        .value_kind:     global_buffer
      - .offset:         16
        .size:           8
        .value_kind:     by_value
      - .address_space:  global
        .offset:         24
        .size:           8
        .value_kind:     global_buffer
      - .offset:         32
        .size:           8
        .value_kind:     by_value
      - .address_space:  global
        .offset:         40
        .size:           8
        .value_kind:     global_buffer
    .group_segment_fixed_size: 0
    .kernarg_segment_align: 8
    .kernarg_segment_size: 48
    .language:       OpenCL C
    .language_version:
      - 2
      - 0
    .max_flat_workgroup_size: 512
    .name:           _ZN9rocsolver6v33100L20stedcx_divide_kernelIdEEviPT_lS3_lPi
    .private_segment_fixed_size: 0
    .sgpr_count:     28
    .sgpr_spill_count: 0
    .symbol:         _ZN9rocsolver6v33100L20stedcx_divide_kernelIdEEviPT_lS3_lPi.kd
    .uniform_work_group_size: 1
    .uses_dynamic_stack: false
    .vgpr_count:     17
    .vgpr_spill_count: 0
    .wavefront_size: 32
    .workgroup_processor_mode: 1
  - .args:
      - .offset:         0
        .size:           4
        .value_kind:     by_value
      - .address_space:  global
        .offset:         8
        .size:           8
        .value_kind:     global_buffer
      - .offset:         16
        .size:           8
        .value_kind:     by_value
      - .address_space:  global
        .offset:         24
        .size:           8
        .value_kind:     global_buffer
      - .offset:         32
        .size:           8
        .value_kind:     by_value
      - .address_space:  global
        .offset:         40
        .size:           8
        .value_kind:     global_buffer
      - .offset:         48
        .size:           4
        .value_kind:     by_value
      - .offset:         52
        .size:           4
        .value_kind:     by_value
      - .offset:         56
        .size:           8
        .value_kind:     by_value
      - .address_space:  global
        .offset:         64
        .size:           8
        .value_kind:     global_buffer
      - .address_space:  global
        .offset:         72
        .size:           8
        .value_kind:     global_buffer
      - .address_space:  global
        .offset:         80
        .size:           8
        .value_kind:     global_buffer
      - .offset:         88
        .size:           8
        .value_kind:     by_value
      - .offset:         96
        .size:           8
        .value_kind:     by_value
      - .offset:         104
        .size:           8
        .value_kind:     by_value
      - .offset:         112
        .size:           4
        .value_kind:     hidden_block_count_x
      - .offset:         116
        .size:           4
        .value_kind:     hidden_block_count_y
      - .offset:         120
        .size:           4
        .value_kind:     hidden_block_count_z
      - .offset:         124
        .size:           2
        .value_kind:     hidden_group_size_x
      - .offset:         126
        .size:           2
        .value_kind:     hidden_group_size_y
      - .offset:         128
        .size:           2
        .value_kind:     hidden_group_size_z
      - .offset:         130
        .size:           2
        .value_kind:     hidden_remainder_x
      - .offset:         132
        .size:           2
        .value_kind:     hidden_remainder_y
      - .offset:         134
        .size:           2
        .value_kind:     hidden_remainder_z
      - .offset:         152
        .size:           8
        .value_kind:     hidden_global_offset_x
      - .offset:         160
        .size:           8
        .value_kind:     hidden_global_offset_y
      - .offset:         168
        .size:           8
        .value_kind:     hidden_global_offset_z
      - .offset:         176
        .size:           2
        .value_kind:     hidden_grid_dims
    .group_segment_fixed_size: 48
    .kernarg_segment_align: 8
    .kernarg_segment_size: 368
    .language:       OpenCL C
    .language_version:
      - 2
      - 0
    .max_flat_workgroup_size: 512
    .name:           _ZN9rocsolver6v33100L19stedcx_solve_kernelIdEEviPT_lS3_lS3_iilPiS3_S4_S2_S2_S2_
    .private_segment_fixed_size: 0
    .sgpr_count:     107
    .sgpr_spill_count: 3
    .symbol:         _ZN9rocsolver6v33100L19stedcx_solve_kernelIdEEviPT_lS3_lS3_iilPiS3_S4_S2_S2_S2_.kd
    .uniform_work_group_size: 1
    .uses_dynamic_stack: false
    .vgpr_count:     73
    .vgpr_spill_count: 0
    .wavefront_size: 32
    .workgroup_processor_mode: 1
  - .args:
      - .offset:         0
        .size:           4
        .value_kind:     by_value
      - .offset:         4
        .size:           4
        .value_kind:     by_value
      - .address_space:  global
        .offset:         8
        .size:           8
        .value_kind:     global_buffer
      - .offset:         16
        .size:           8
        .value_kind:     by_value
      - .address_space:  global
        .offset:         24
        .size:           8
        .value_kind:     global_buffer
      - .offset:         32
        .size:           8
        .value_kind:     by_value
      - .address_space:  global
        .offset:         40
        .size:           8
        .value_kind:     global_buffer
      - .offset:         48
        .size:           4
        .value_kind:     by_value
      - .offset:         52
        .size:           4
        .value_kind:     by_value
      - .offset:         56
        .size:           8
        .value_kind:     by_value
      - .address_space:  global
        .offset:         64
        .size:           8
        .value_kind:     global_buffer
      - .address_space:  global
        .offset:         72
        .size:           8
        .value_kind:     global_buffer
      - .address_space:  global
        .offset:         80
        .size:           8
        .value_kind:     global_buffer
      - .offset:         88
        .size:           8
        .value_kind:     by_value
      - .offset:         96
        .size:           4
        .value_kind:     hidden_block_count_x
      - .offset:         100
        .size:           4
        .value_kind:     hidden_block_count_y
      - .offset:         104
        .size:           4
        .value_kind:     hidden_block_count_z
      - .offset:         108
        .size:           2
        .value_kind:     hidden_group_size_x
      - .offset:         110
        .size:           2
        .value_kind:     hidden_group_size_y
      - .offset:         112
        .size:           2
        .value_kind:     hidden_group_size_z
      - .offset:         114
        .size:           2
        .value_kind:     hidden_remainder_x
      - .offset:         116
        .size:           2
        .value_kind:     hidden_remainder_y
      - .offset:         118
        .size:           2
        .value_kind:     hidden_remainder_z
      - .offset:         136
        .size:           8
        .value_kind:     hidden_global_offset_x
      - .offset:         144
        .size:           8
        .value_kind:     hidden_global_offset_y
      - .offset:         152
        .size:           8
        .value_kind:     hidden_global_offset_z
      - .offset:         160
        .size:           2
        .value_kind:     hidden_grid_dims
      - .offset:         216
        .size:           4
        .value_kind:     hidden_dynamic_lds_size
    .group_segment_fixed_size: 0
    .kernarg_segment_align: 8
    .kernarg_segment_size: 352
    .language:       OpenCL C
    .language_version:
      - 2
      - 0
    .max_flat_workgroup_size: 512
    .name:           _ZN9rocsolver6v33100L26stedcx_mergePrepare_kernelIdEEviiPT_lS3_lS3_iilS3_S3_PiS2_
    .private_segment_fixed_size: 0
    .sgpr_count:     72
    .sgpr_spill_count: 0
    .symbol:         _ZN9rocsolver6v33100L26stedcx_mergePrepare_kernelIdEEviiPT_lS3_lS3_iilS3_S3_PiS2_.kd
    .uniform_work_group_size: 1
    .uses_dynamic_stack: false
    .vgpr_count:     42
    .vgpr_spill_count: 0
    .wavefront_size: 32
    .workgroup_processor_mode: 1
  - .args:
      - .offset:         0
        .size:           4
        .value_kind:     by_value
      - .offset:         4
        .size:           4
        .value_kind:     by_value
      - .address_space:  global
        .offset:         8
        .size:           8
        .value_kind:     global_buffer
      - .offset:         16
        .size:           8
        .value_kind:     by_value
      - .address_space:  global
        .offset:         24
        .size:           8
        .value_kind:     global_buffer
      - .offset:         32
        .size:           8
        .value_kind:     by_value
      - .address_space:  global
        .offset:         40
        .size:           8
        .value_kind:     global_buffer
      - .address_space:  global
        .offset:         48
        .size:           8
        .value_kind:     global_buffer
      - .address_space:  global
        .offset:         56
        .size:           8
        .value_kind:     global_buffer
      - .offset:         64
        .size:           8
        .value_kind:     by_value
      - .offset:         72
        .size:           8
        .value_kind:     by_value
      - .offset:         80
        .size:           8
        .value_kind:     by_value
      - .offset:         88
        .size:           4
        .value_kind:     hidden_block_count_x
      - .offset:         92
        .size:           4
        .value_kind:     hidden_block_count_y
      - .offset:         96
        .size:           4
        .value_kind:     hidden_block_count_z
      - .offset:         100
        .size:           2
        .value_kind:     hidden_group_size_x
      - .offset:         102
        .size:           2
        .value_kind:     hidden_group_size_y
      - .offset:         104
        .size:           2
        .value_kind:     hidden_group_size_z
      - .offset:         106
        .size:           2
        .value_kind:     hidden_remainder_x
      - .offset:         108
        .size:           2
        .value_kind:     hidden_remainder_y
      - .offset:         110
        .size:           2
        .value_kind:     hidden_remainder_z
      - .offset:         128
        .size:           8
        .value_kind:     hidden_global_offset_x
      - .offset:         136
        .size:           8
        .value_kind:     hidden_global_offset_y
      - .offset:         144
        .size:           8
        .value_kind:     hidden_global_offset_z
      - .offset:         152
        .size:           2
        .value_kind:     hidden_grid_dims
    .group_segment_fixed_size: 0
    .kernarg_segment_align: 8
    .kernarg_segment_size: 344
    .language:       OpenCL C
    .language_version:
      - 2
      - 0
    .max_flat_workgroup_size: 512
    .name:           _ZN9rocsolver6v33100L25stedcx_mergeValues_kernelIdEEviiPT_lS3_lS3_S3_PiS2_S2_S2_
    .private_segment_fixed_size: 0
    .sgpr_count:     103
    .sgpr_spill_count: 0
    .symbol:         _ZN9rocsolver6v33100L25stedcx_mergeValues_kernelIdEEviiPT_lS3_lS3_S3_PiS2_S2_S2_.kd
    .uniform_work_group_size: 1
    .uses_dynamic_stack: false
    .vgpr_count:     77
    .vgpr_spill_count: 0
    .wavefront_size: 32
    .workgroup_processor_mode: 1
  - .args:
      - .offset:         0
        .size:           4
        .value_kind:     by_value
      - .offset:         4
        .size:           4
        .value_kind:     by_value
      - .address_space:  global
        .offset:         8
        .size:           8
        .value_kind:     global_buffer
      - .offset:         16
        .size:           8
        .value_kind:     by_value
      - .address_space:  global
        .offset:         24
        .size:           8
        .value_kind:     global_buffer
      - .offset:         32
        .size:           8
        .value_kind:     by_value
      - .address_space:  global
        .offset:         40
        .size:           8
        .value_kind:     global_buffer
      - .offset:         48
        .size:           4
        .value_kind:     by_value
      - .offset:         52
        .size:           4
        .value_kind:     by_value
      - .offset:         56
        .size:           8
        .value_kind:     by_value
      - .address_space:  global
        .offset:         64
        .size:           8
        .value_kind:     global_buffer
      - .address_space:  global
        .offset:         72
        .size:           8
        .value_kind:     global_buffer
      - .address_space:  global
        .offset:         80
        .size:           8
        .value_kind:     global_buffer
      - .offset:         88
        .size:           4
        .value_kind:     hidden_block_count_x
      - .offset:         92
        .size:           4
        .value_kind:     hidden_block_count_y
      - .offset:         96
        .size:           4
        .value_kind:     hidden_block_count_z
      - .offset:         100
        .size:           2
        .value_kind:     hidden_group_size_x
      - .offset:         102
        .size:           2
        .value_kind:     hidden_group_size_y
      - .offset:         104
        .size:           2
        .value_kind:     hidden_group_size_z
      - .offset:         106
        .size:           2
        .value_kind:     hidden_remainder_x
      - .offset:         108
        .size:           2
        .value_kind:     hidden_remainder_y
      - .offset:         110
        .size:           2
        .value_kind:     hidden_remainder_z
      - .offset:         128
        .size:           8
        .value_kind:     hidden_global_offset_x
      - .offset:         136
        .size:           8
        .value_kind:     hidden_global_offset_y
      - .offset:         144
        .size:           8
        .value_kind:     hidden_global_offset_z
      - .offset:         152
        .size:           2
        .value_kind:     hidden_grid_dims
      - .offset:         208
        .size:           4
        .value_kind:     hidden_dynamic_lds_size
    .group_segment_fixed_size: 0
    .kernarg_segment_align: 8
    .kernarg_segment_size: 344
    .language:       OpenCL C
    .language_version:
      - 2
      - 0
    .max_flat_workgroup_size: 512
    .name:           _ZN9rocsolver6v33100L26stedcx_mergeVectors_kernelILb0EdEEviiPT0_lS3_lS3_iilS3_S3_Pi
    .private_segment_fixed_size: 0
    .sgpr_count:     58
    .sgpr_spill_count: 0
    .symbol:         _ZN9rocsolver6v33100L26stedcx_mergeVectors_kernelILb0EdEEviiPT0_lS3_lS3_iilS3_S3_Pi.kd
    .uniform_work_group_size: 1
    .uses_dynamic_stack: false
    .vgpr_count:     30
    .vgpr_spill_count: 0
    .wavefront_size: 32
    .workgroup_processor_mode: 1
  - .args:
      - .offset:         0
        .size:           4
        .value_kind:     by_value
      - .offset:         4
        .size:           4
        .value_kind:     by_value
      - .address_space:  global
        .offset:         8
        .size:           8
        .value_kind:     global_buffer
      - .offset:         16
        .size:           8
        .value_kind:     by_value
      - .address_space:  global
        .offset:         24
        .size:           8
        .value_kind:     global_buffer
      - .offset:         32
        .size:           4
        .value_kind:     by_value
      - .offset:         36
        .size:           4
        .value_kind:     by_value
      - .offset:         40
        .size:           8
        .value_kind:     by_value
      - .address_space:  global
        .offset:         48
        .size:           8
        .value_kind:     global_buffer
      - .address_space:  global
        .offset:         56
        .size:           8
        .value_kind:     global_buffer
      - .address_space:  global
        .offset:         64
        .size:           8
        .value_kind:     global_buffer
      - .offset:         72
        .size:           4
        .value_kind:     hidden_block_count_x
      - .offset:         76
        .size:           4
        .value_kind:     hidden_block_count_y
      - .offset:         80
        .size:           4
        .value_kind:     hidden_block_count_z
      - .offset:         84
        .size:           2
        .value_kind:     hidden_group_size_x
      - .offset:         86
        .size:           2
        .value_kind:     hidden_group_size_y
      - .offset:         88
        .size:           2
        .value_kind:     hidden_group_size_z
      - .offset:         90
        .size:           2
        .value_kind:     hidden_remainder_x
      - .offset:         92
        .size:           2
        .value_kind:     hidden_remainder_y
      - .offset:         94
        .size:           2
        .value_kind:     hidden_remainder_z
      - .offset:         112
        .size:           8
        .value_kind:     hidden_global_offset_x
      - .offset:         120
        .size:           8
        .value_kind:     hidden_global_offset_y
      - .offset:         128
        .size:           8
        .value_kind:     hidden_global_offset_z
      - .offset:         136
        .size:           2
        .value_kind:     hidden_grid_dims
    .group_segment_fixed_size: 0
    .kernarg_segment_align: 8
    .kernarg_segment_size: 328
    .language:       OpenCL C
    .language_version:
      - 2
      - 0
    .max_flat_workgroup_size: 512
    .name:           _ZN9rocsolver6v33100L25stedcx_mergeUpdate_kernelIdEEviiPT_lS3_iilS3_S3_Pi
    .private_segment_fixed_size: 0
    .sgpr_count:     50
    .sgpr_spill_count: 0
    .symbol:         _ZN9rocsolver6v33100L25stedcx_mergeUpdate_kernelIdEEviiPT_lS3_iilS3_S3_Pi.kd
    .uniform_work_group_size: 1
    .uses_dynamic_stack: false
    .vgpr_count:     13
    .vgpr_spill_count: 0
    .wavefront_size: 32
    .workgroup_processor_mode: 1
  - .args:
      - .offset:         0
        .size:           4
        .value_kind:     by_value
      - .offset:         4
        .size:           4
        .value_kind:     by_value
      - .offset:         8
        .size:           4
        .value_kind:     by_value
      - .offset:         12
        .size:           4
        .value_kind:     by_value
      - .address_space:  global
        .offset:         16
        .size:           8
        .value_kind:     global_buffer
      - .offset:         24
        .size:           8
        .value_kind:     by_value
      - .address_space:  global
        .offset:         32
        .size:           8
        .value_kind:     global_buffer
      - .address_space:  global
        .offset:         40
        .size:           8
        .value_kind:     global_buffer
      - .offset:         48
        .size:           8
        .value_kind:     by_value
      - .address_space:  global
        .offset:         56
        .size:           8
        .value_kind:     global_buffer
      - .offset:         64
        .size:           4
        .value_kind:     by_value
      - .offset:         72
        .size:           8
        .value_kind:     by_value
      - .offset:         80
        .size:           4
        .value_kind:     by_value
      - .address_space:  global
        .offset:         88
        .size:           8
        .value_kind:     global_buffer
      - .address_space:  global
        .offset:         96
        .size:           8
        .value_kind:     global_buffer
      - .offset:         104
        .size:           8
        .value_kind:     by_value
      - .offset:         112
        .size:           4
        .value_kind:     hidden_block_count_x
      - .offset:         116
        .size:           4
        .value_kind:     hidden_block_count_y
      - .offset:         120
        .size:           4
        .value_kind:     hidden_block_count_z
      - .offset:         124
        .size:           2
        .value_kind:     hidden_group_size_x
      - .offset:         126
        .size:           2
        .value_kind:     hidden_group_size_y
      - .offset:         128
        .size:           2
        .value_kind:     hidden_group_size_z
      - .offset:         130
        .size:           2
        .value_kind:     hidden_remainder_x
      - .offset:         132
        .size:           2
        .value_kind:     hidden_remainder_y
      - .offset:         134
        .size:           2
        .value_kind:     hidden_remainder_z
      - .offset:         152
        .size:           8
        .value_kind:     hidden_global_offset_x
      - .offset:         160
        .size:           8
        .value_kind:     hidden_global_offset_y
      - .offset:         168
        .size:           8
        .value_kind:     hidden_global_offset_z
      - .offset:         176
        .size:           2
        .value_kind:     hidden_grid_dims
    .group_segment_fixed_size: 0
    .kernarg_segment_align: 8
    .kernarg_segment_size: 368
    .language:       OpenCL C
    .language_version:
      - 2
      - 0
    .max_flat_workgroup_size: 512
    .name:           _ZN9rocsolver6v33100L23stedcx_synthesis_kernelIdEEv15rocblas_erange_iiiPT_lPiS4_lS4_iliS5_S4_S3_
    .private_segment_fixed_size: 0
    .sgpr_count:     58
    .sgpr_spill_count: 0
    .symbol:         _ZN9rocsolver6v33100L23stedcx_synthesis_kernelIdEEv15rocblas_erange_iiiPT_lPiS4_lS4_iliS5_S4_S3_.kd
    .uniform_work_group_size: 1
    .uses_dynamic_stack: false
    .vgpr_count:     23
    .vgpr_spill_count: 0
    .wavefront_size: 32
    .workgroup_processor_mode: 1
  - .args:
      - .offset:         0
        .size:           4
        .value_kind:     by_value
      - .offset:         4
        .size:           4
        .value_kind:     by_value
      - .offset:         8
        .size:           4
        .value_kind:     by_value
      - .address_space:  global
        .offset:         16
        .size:           8
        .value_kind:     global_buffer
      - .offset:         24
        .size:           4
        .value_kind:     by_value
      - .offset:         28
        .size:           4
        .value_kind:     by_value
      - .offset:         32
        .size:           8
        .value_kind:     by_value
      - .address_space:  global
        .offset:         40
        .size:           8
        .value_kind:     global_buffer
      - .offset:         48
        .size:           1
        .value_kind:     by_value
      - .offset:         52
        .size:           4
        .value_kind:     by_value
      - .offset:         56
        .size:           4
        .value_kind:     by_value
      - .offset:         64
        .size:           4
        .value_kind:     hidden_block_count_x
      - .offset:         68
        .size:           4
        .value_kind:     hidden_block_count_y
      - .offset:         72
        .size:           4
        .value_kind:     hidden_block_count_z
      - .offset:         76
        .size:           2
        .value_kind:     hidden_group_size_x
      - .offset:         78
        .size:           2
        .value_kind:     hidden_group_size_y
      - .offset:         80
        .size:           2
        .value_kind:     hidden_group_size_z
      - .offset:         82
        .size:           2
        .value_kind:     hidden_remainder_x
      - .offset:         84
        .size:           2
        .value_kind:     hidden_remainder_y
      - .offset:         86
        .size:           2
        .value_kind:     hidden_remainder_z
      - .offset:         104
        .size:           8
        .value_kind:     hidden_global_offset_x
      - .offset:         112
        .size:           8
        .value_kind:     hidden_global_offset_y
      - .offset:         120
        .size:           8
        .value_kind:     hidden_global_offset_z
      - .offset:         128
        .size:           2
        .value_kind:     hidden_grid_dims
    .group_segment_fixed_size: 0
    .kernarg_segment_align: 8
    .kernarg_segment_size: 320
    .language:       OpenCL C
    .language_version:
      - 2
      - 0
    .max_flat_workgroup_size: 1024
    .name:           _ZN9rocsolver6v33100L8copy_matIdPdNS0_7no_maskEEEvNS0_17copymat_directionEiiT0_iilPT_T1_13rocblas_fill_17rocblas_diagonal_
    .private_segment_fixed_size: 0
    .sgpr_count:     20
    .sgpr_spill_count: 0
    .symbol:         _ZN9rocsolver6v33100L8copy_matIdPdNS0_7no_maskEEEvNS0_17copymat_directionEiiT0_iilPT_T1_13rocblas_fill_17rocblas_diagonal_.kd
    .uniform_work_group_size: 1
    .uses_dynamic_stack: false
    .vgpr_count:     8
    .vgpr_spill_count: 0
    .wavefront_size: 32
    .workgroup_processor_mode: 1
  - .args:
      - .offset:         0
        .size:           4
        .value_kind:     by_value
      - .address_space:  global
        .offset:         8
        .size:           8
        .value_kind:     global_buffer
      - .offset:         16
        .size:           8
        .value_kind:     by_value
      - .address_space:  global
        .offset:         24
        .size:           8
        .value_kind:     global_buffer
      - .offset:         32
        .size:           4
        .value_kind:     by_value
      - .offset:         36
        .size:           4
        .value_kind:     by_value
      - .offset:         40
        .size:           8
        .value_kind:     by_value
      - .offset:         48
        .size:           4
        .value_kind:     by_value
      - .address_space:  global
        .offset:         56
        .size:           8
        .value_kind:     global_buffer
      - .address_space:  global
        .offset:         64
        .size:           8
        .value_kind:     global_buffer
      - .offset:         72
        .size:           4
        .value_kind:     hidden_block_count_x
      - .offset:         76
        .size:           4
        .value_kind:     hidden_block_count_y
      - .offset:         80
        .size:           4
        .value_kind:     hidden_block_count_z
      - .offset:         84
        .size:           2
        .value_kind:     hidden_group_size_x
      - .offset:         86
        .size:           2
        .value_kind:     hidden_group_size_y
      - .offset:         88
        .size:           2
        .value_kind:     hidden_group_size_z
      - .offset:         90
        .size:           2
        .value_kind:     hidden_remainder_x
      - .offset:         92
        .size:           2
        .value_kind:     hidden_remainder_y
      - .offset:         94
        .size:           2
        .value_kind:     hidden_remainder_z
      - .offset:         112
        .size:           8
        .value_kind:     hidden_global_offset_x
      - .offset:         120
        .size:           8
        .value_kind:     hidden_global_offset_y
      - .offset:         128
        .size:           8
        .value_kind:     hidden_global_offset_z
      - .offset:         136
        .size:           2
        .value_kind:     hidden_grid_dims
      - .offset:         152
        .size:           8
        .value_kind:     hidden_hostcall_buffer
    .group_segment_fixed_size: 0
    .kernarg_segment_align: 8
    .kernarg_segment_size: 328
    .language:       OpenCL C
    .language_version:
      - 2
      - 0
    .max_flat_workgroup_size: 256
    .name:           _ZN9rocsolver6v33100L11stedcx_sortIddPdEEviPT0_lT1_iiliPiS6_
    .private_segment_fixed_size: 64
    .sgpr_count:     58
    .sgpr_spill_count: 0
    .symbol:         _ZN9rocsolver6v33100L11stedcx_sortIddPdEEviPT0_lT1_iiliPiS6_.kd
    .uniform_work_group_size: 1
    .uses_dynamic_stack: false
    .vgpr_count:     51
    .vgpr_spill_count: 0
    .wavefront_size: 32
    .workgroup_processor_mode: 1
  - .args:
      - .address_space:  global
        .offset:         0
        .size:           8
        .value_kind:     global_buffer
      - .offset:         8
        .size:           8
        .value_kind:     by_value
      - .offset:         16
        .size:           4
        .value_kind:     by_value
      - .offset:         20
        .size:           4
        .value_kind:     by_value
      - .offset:         24
        .size:           4
        .value_kind:     hidden_block_count_x
      - .offset:         28
        .size:           4
        .value_kind:     hidden_block_count_y
      - .offset:         32
        .size:           4
        .value_kind:     hidden_block_count_z
      - .offset:         36
        .size:           2
        .value_kind:     hidden_group_size_x
      - .offset:         38
        .size:           2
        .value_kind:     hidden_group_size_y
      - .offset:         40
        .size:           2
        .value_kind:     hidden_group_size_z
      - .offset:         42
        .size:           2
        .value_kind:     hidden_remainder_x
      - .offset:         44
        .size:           2
        .value_kind:     hidden_remainder_y
      - .offset:         46
        .size:           2
        .value_kind:     hidden_remainder_z
      - .offset:         64
        .size:           8
        .value_kind:     hidden_global_offset_x
      - .offset:         72
        .size:           8
        .value_kind:     hidden_global_offset_y
      - .offset:         80
        .size:           8
        .value_kind:     hidden_global_offset_z
      - .offset:         88
        .size:           2
        .value_kind:     hidden_grid_dims
    .group_segment_fixed_size: 0
    .kernarg_segment_align: 8
    .kernarg_segment_size: 280
    .language:       OpenCL C
    .language_version:
      - 2
      - 0
    .max_flat_workgroup_size: 1024
    .name:           _ZN9rocsolver6v33100L16reset_batch_infoI19rocblas_complex_numIfEiiPS3_EEvT2_lT0_T1_
    .private_segment_fixed_size: 0
    .sgpr_count:     18
    .sgpr_spill_count: 0
    .symbol:         _ZN9rocsolver6v33100L16reset_batch_infoI19rocblas_complex_numIfEiiPS3_EEvT2_lT0_T1_.kd
    .uniform_work_group_size: 1
    .uses_dynamic_stack: false
    .vgpr_count:     4
    .vgpr_spill_count: 0
    .wavefront_size: 32
    .workgroup_processor_mode: 1
  - .args:
      - .offset:         0
        .size:           4
        .value_kind:     by_value
      - .offset:         4
        .size:           4
        .value_kind:     by_value
      - .address_space:  global
        .offset:         8
        .size:           8
        .value_kind:     global_buffer
      - .offset:         16
        .size:           4
        .value_kind:     by_value
      - .offset:         20
        .size:           4
        .value_kind:     by_value
      - .offset:         24
        .size:           8
        .value_kind:     by_value
      - .offset:         32
        .size:           4
        .value_kind:     hidden_block_count_x
      - .offset:         36
        .size:           4
        .value_kind:     hidden_block_count_y
      - .offset:         40
        .size:           4
        .value_kind:     hidden_block_count_z
      - .offset:         44
        .size:           2
        .value_kind:     hidden_group_size_x
      - .offset:         46
        .size:           2
        .value_kind:     hidden_group_size_y
      - .offset:         48
        .size:           2
        .value_kind:     hidden_group_size_z
      - .offset:         50
        .size:           2
        .value_kind:     hidden_remainder_x
      - .offset:         52
        .size:           2
        .value_kind:     hidden_remainder_y
      - .offset:         54
        .size:           2
        .value_kind:     hidden_remainder_z
      - .offset:         72
        .size:           8
        .value_kind:     hidden_global_offset_x
      - .offset:         80
        .size:           8
        .value_kind:     hidden_global_offset_y
      - .offset:         88
        .size:           8
        .value_kind:     hidden_global_offset_z
      - .offset:         96
        .size:           2
        .value_kind:     hidden_grid_dims
    .group_segment_fixed_size: 0
    .kernarg_segment_align: 8
    .kernarg_segment_size: 288
    .language:       OpenCL C
    .language_version:
      - 2
      - 0
    .max_flat_workgroup_size: 1024
    .name:           _ZN9rocsolver6v33100L10init_identI19rocblas_complex_numIfEPS3_EEviiT0_iil
    .private_segment_fixed_size: 0
    .sgpr_count:     18
    .sgpr_spill_count: 0
    .symbol:         _ZN9rocsolver6v33100L10init_identI19rocblas_complex_numIfEPS3_EEviiT0_iil.kd
    .uniform_work_group_size: 1
    .uses_dynamic_stack: false
    .vgpr_count:     7
    .vgpr_spill_count: 0
    .wavefront_size: 32
    .workgroup_processor_mode: 1
  - .args:
      - .offset:         0
        .size:           4
        .value_kind:     by_value
      - .offset:         4
        .size:           4
        .value_kind:     by_value
      - .offset:         8
        .size:           4
        .value_kind:     by_value
      - .address_space:  global
        .offset:         16
        .size:           8
        .value_kind:     global_buffer
      - .offset:         24
        .size:           4
        .value_kind:     by_value
      - .offset:         28
        .size:           4
        .value_kind:     by_value
      - .offset:         32
        .size:           8
        .value_kind:     by_value
      - .address_space:  global
        .offset:         40
        .size:           8
        .value_kind:     global_buffer
      - .offset:         48
        .size:           4
        .value_kind:     by_value
      - .offset:         52
        .size:           4
        .value_kind:     by_value
      - .offset:         56
        .size:           4
        .value_kind:     hidden_block_count_x
      - .offset:         60
        .size:           4
        .value_kind:     hidden_block_count_y
      - .offset:         64
        .size:           4
        .value_kind:     hidden_block_count_z
      - .offset:         68
        .size:           2
        .value_kind:     hidden_group_size_x
      - .offset:         70
        .size:           2
        .value_kind:     hidden_group_size_y
      - .offset:         72
        .size:           2
        .value_kind:     hidden_group_size_z
      - .offset:         74
        .size:           2
        .value_kind:     hidden_remainder_x
      - .offset:         76
        .size:           2
        .value_kind:     hidden_remainder_y
      - .offset:         78
        .size:           2
        .value_kind:     hidden_remainder_z
      - .offset:         96
        .size:           8
        .value_kind:     hidden_global_offset_x
      - .offset:         104
        .size:           8
        .value_kind:     hidden_global_offset_y
      - .offset:         112
        .size:           8
        .value_kind:     hidden_global_offset_z
      - .offset:         120
        .size:           2
        .value_kind:     hidden_grid_dims
    .group_segment_fixed_size: 0
    .kernarg_segment_align: 8
    .kernarg_segment_size: 312
    .language:       OpenCL C
    .language_version:
      - 2
      - 0
    .max_flat_workgroup_size: 1024
    .name:           _ZN9rocsolver6v33100L8copy_matI19rocblas_complex_numIfEfLb1EPS3_TnNSt9enable_ifIX18rocblas_is_complexIT_EEiE4typeELi0EEEvNS0_17copymat_directionEiiT2_iilPT0_13rocblas_fill_17rocblas_diagonal_
    .private_segment_fixed_size: 0
    .sgpr_count:     20
    .sgpr_spill_count: 0
    .symbol:         _ZN9rocsolver6v33100L8copy_matI19rocblas_complex_numIfEfLb1EPS3_TnNSt9enable_ifIX18rocblas_is_complexIT_EEiE4typeELi0EEEvNS0_17copymat_directionEiiT2_iilPT0_13rocblas_fill_17rocblas_diagonal_.kd
    .uniform_work_group_size: 1
    .uses_dynamic_stack: false
    .vgpr_count:     7
    .vgpr_spill_count: 0
    .wavefront_size: 32
    .workgroup_processor_mode: 1
  - .args:
      - .offset:         0
        .size:           4
        .value_kind:     by_value
      - .offset:         4
        .size:           4
        .value_kind:     by_value
      - .offset:         8
        .size:           4
        .value_kind:     by_value
      - .address_space:  global
        .offset:         16
        .size:           8
        .value_kind:     global_buffer
      - .offset:         24
        .size:           4
        .value_kind:     by_value
      - .offset:         28
        .size:           4
        .value_kind:     by_value
      - .offset:         32
        .size:           8
        .value_kind:     by_value
      - .address_space:  global
        .offset:         40
        .size:           8
        .value_kind:     global_buffer
      - .offset:         48
        .size:           4
        .value_kind:     by_value
      - .offset:         52
        .size:           4
        .value_kind:     by_value
      - .offset:         56
        .size:           4
        .value_kind:     hidden_block_count_x
      - .offset:         60
        .size:           4
        .value_kind:     hidden_block_count_y
      - .offset:         64
        .size:           4
        .value_kind:     hidden_block_count_z
      - .offset:         68
        .size:           2
        .value_kind:     hidden_group_size_x
      - .offset:         70
        .size:           2
        .value_kind:     hidden_group_size_y
      - .offset:         72
        .size:           2
        .value_kind:     hidden_group_size_z
      - .offset:         74
        .size:           2
        .value_kind:     hidden_remainder_x
      - .offset:         76
        .size:           2
        .value_kind:     hidden_remainder_y
      - .offset:         78
        .size:           2
        .value_kind:     hidden_remainder_z
      - .offset:         96
        .size:           8
        .value_kind:     hidden_global_offset_x
      - .offset:         104
        .size:           8
        .value_kind:     hidden_global_offset_y
      - .offset:         112
        .size:           8
        .value_kind:     hidden_global_offset_z
      - .offset:         120
        .size:           2
        .value_kind:     hidden_grid_dims
    .group_segment_fixed_size: 0
    .kernarg_segment_align: 8
    .kernarg_segment_size: 312
    .language:       OpenCL C
    .language_version:
      - 2
      - 0
    .max_flat_workgroup_size: 1024
    .name:           _ZN9rocsolver6v33100L8copy_matI19rocblas_complex_numIfEfLb0EPS3_TnNSt9enable_ifIX18rocblas_is_complexIT_EEiE4typeELi0EEEvNS0_17copymat_directionEiiT2_iilPT0_13rocblas_fill_17rocblas_diagonal_
    .private_segment_fixed_size: 0
    .sgpr_count:     21
    .sgpr_spill_count: 0
    .symbol:         _ZN9rocsolver6v33100L8copy_matI19rocblas_complex_numIfEfLb0EPS3_TnNSt9enable_ifIX18rocblas_is_complexIT_EEiE4typeELi0EEEvNS0_17copymat_directionEiiT2_iilPT0_13rocblas_fill_17rocblas_diagonal_.kd
    .uniform_work_group_size: 1
    .uses_dynamic_stack: false
    .vgpr_count:     7
    .vgpr_spill_count: 0
    .wavefront_size: 32
    .workgroup_processor_mode: 1
  - .args:
      - .offset:         0
        .size:           4
        .value_kind:     by_value
      - .address_space:  global
        .offset:         8
        .size:           8
        .value_kind:     global_buffer
      - .offset:         16
        .size:           8
        .value_kind:     by_value
      - .address_space:  global
        .offset:         24
        .size:           8
        .value_kind:     global_buffer
      - .offset:         32
        .size:           4
        .value_kind:     by_value
      - .offset:         36
        .size:           4
        .value_kind:     by_value
      - .offset:         40
        .size:           8
        .value_kind:     by_value
      - .offset:         48
        .size:           4
        .value_kind:     by_value
      - .address_space:  global
        .offset:         56
        .size:           8
        .value_kind:     global_buffer
      - .address_space:  global
        .offset:         64
        .size:           8
        .value_kind:     global_buffer
      - .offset:         72
        .size:           4
        .value_kind:     hidden_block_count_x
      - .offset:         76
        .size:           4
        .value_kind:     hidden_block_count_y
      - .offset:         80
        .size:           4
        .value_kind:     hidden_block_count_z
      - .offset:         84
        .size:           2
        .value_kind:     hidden_group_size_x
      - .offset:         86
        .size:           2
        .value_kind:     hidden_group_size_y
      - .offset:         88
        .size:           2
        .value_kind:     hidden_group_size_z
      - .offset:         90
        .size:           2
        .value_kind:     hidden_remainder_x
      - .offset:         92
        .size:           2
        .value_kind:     hidden_remainder_y
      - .offset:         94
        .size:           2
        .value_kind:     hidden_remainder_z
      - .offset:         112
        .size:           8
        .value_kind:     hidden_global_offset_x
      - .offset:         120
        .size:           8
        .value_kind:     hidden_global_offset_y
      - .offset:         128
        .size:           8
        .value_kind:     hidden_global_offset_z
      - .offset:         136
        .size:           2
        .value_kind:     hidden_grid_dims
      - .offset:         152
        .size:           8
        .value_kind:     hidden_hostcall_buffer
    .group_segment_fixed_size: 0
    .kernarg_segment_align: 8
    .kernarg_segment_size: 328
    .language:       OpenCL C
    .language_version:
      - 2
      - 0
    .max_flat_workgroup_size: 256
    .name:           _ZN9rocsolver6v33100L11stedcx_sortI19rocblas_complex_numIfEfPS3_EEviPT0_lT1_iiliPiS8_
    .private_segment_fixed_size: 64
    .sgpr_count:     58
    .sgpr_spill_count: 0
    .symbol:         _ZN9rocsolver6v33100L11stedcx_sortI19rocblas_complex_numIfEfPS3_EEviPT0_lT1_iiliPiS8_.kd
    .uniform_work_group_size: 1
    .uses_dynamic_stack: false
    .vgpr_count:     51
    .vgpr_spill_count: 0
    .wavefront_size: 32
    .workgroup_processor_mode: 1
  - .args:
      - .address_space:  global
        .offset:         0
        .size:           8
        .value_kind:     global_buffer
      - .offset:         8
        .size:           8
        .value_kind:     by_value
      - .offset:         16
        .size:           4
        .value_kind:     by_value
      - .offset:         20
        .size:           4
        .value_kind:     by_value
      - .offset:         24
        .size:           4
        .value_kind:     hidden_block_count_x
      - .offset:         28
        .size:           4
        .value_kind:     hidden_block_count_y
      - .offset:         32
        .size:           4
        .value_kind:     hidden_block_count_z
      - .offset:         36
        .size:           2
        .value_kind:     hidden_group_size_x
      - .offset:         38
        .size:           2
        .value_kind:     hidden_group_size_y
      - .offset:         40
        .size:           2
        .value_kind:     hidden_group_size_z
      - .offset:         42
        .size:           2
        .value_kind:     hidden_remainder_x
      - .offset:         44
        .size:           2
        .value_kind:     hidden_remainder_y
      - .offset:         46
        .size:           2
        .value_kind:     hidden_remainder_z
      - .offset:         64
        .size:           8
        .value_kind:     hidden_global_offset_x
      - .offset:         72
        .size:           8
        .value_kind:     hidden_global_offset_y
      - .offset:         80
        .size:           8
        .value_kind:     hidden_global_offset_z
      - .offset:         88
        .size:           2
        .value_kind:     hidden_grid_dims
    .group_segment_fixed_size: 0
    .kernarg_segment_align: 8
    .kernarg_segment_size: 280
    .language:       OpenCL C
    .language_version:
      - 2
      - 0
    .max_flat_workgroup_size: 1024
    .name:           _ZN9rocsolver6v33100L16reset_batch_infoI19rocblas_complex_numIdEiiPS3_EEvT2_lT0_T1_
    .private_segment_fixed_size: 0
    .sgpr_count:     18
    .sgpr_spill_count: 0
    .symbol:         _ZN9rocsolver6v33100L16reset_batch_infoI19rocblas_complex_numIdEiiPS3_EEvT2_lT0_T1_.kd
    .uniform_work_group_size: 1
    .uses_dynamic_stack: false
    .vgpr_count:     7
    .vgpr_spill_count: 0
    .wavefront_size: 32
    .workgroup_processor_mode: 1
  - .args:
      - .offset:         0
        .size:           4
        .value_kind:     by_value
      - .offset:         4
        .size:           4
        .value_kind:     by_value
      - .address_space:  global
        .offset:         8
        .size:           8
        .value_kind:     global_buffer
      - .offset:         16
        .size:           4
        .value_kind:     by_value
      - .offset:         20
        .size:           4
        .value_kind:     by_value
      - .offset:         24
        .size:           8
        .value_kind:     by_value
      - .offset:         32
        .size:           4
        .value_kind:     hidden_block_count_x
      - .offset:         36
        .size:           4
        .value_kind:     hidden_block_count_y
      - .offset:         40
        .size:           4
        .value_kind:     hidden_block_count_z
      - .offset:         44
        .size:           2
        .value_kind:     hidden_group_size_x
      - .offset:         46
        .size:           2
        .value_kind:     hidden_group_size_y
      - .offset:         48
        .size:           2
        .value_kind:     hidden_group_size_z
      - .offset:         50
        .size:           2
        .value_kind:     hidden_remainder_x
      - .offset:         52
        .size:           2
        .value_kind:     hidden_remainder_y
      - .offset:         54
        .size:           2
        .value_kind:     hidden_remainder_z
      - .offset:         72
        .size:           8
        .value_kind:     hidden_global_offset_x
      - .offset:         80
        .size:           8
        .value_kind:     hidden_global_offset_y
      - .offset:         88
        .size:           8
        .value_kind:     hidden_global_offset_z
      - .offset:         96
        .size:           2
        .value_kind:     hidden_grid_dims
    .group_segment_fixed_size: 0
    .kernarg_segment_align: 8
    .kernarg_segment_size: 288
    .language:       OpenCL C
    .language_version:
      - 2
      - 0
    .max_flat_workgroup_size: 1024
    .name:           _ZN9rocsolver6v33100L10init_identI19rocblas_complex_numIdEPS3_EEviiT0_iil
    .private_segment_fixed_size: 0
    .sgpr_count:     18
    .sgpr_spill_count: 0
    .symbol:         _ZN9rocsolver6v33100L10init_identI19rocblas_complex_numIdEPS3_EEviiT0_iil.kd
    .uniform_work_group_size: 1
    .uses_dynamic_stack: false
    .vgpr_count:     6
    .vgpr_spill_count: 0
    .wavefront_size: 32
    .workgroup_processor_mode: 1
  - .args:
      - .offset:         0
        .size:           4
        .value_kind:     by_value
      - .offset:         4
        .size:           4
        .value_kind:     by_value
      - .offset:         8
        .size:           4
        .value_kind:     by_value
      - .address_space:  global
        .offset:         16
        .size:           8
        .value_kind:     global_buffer
      - .offset:         24
        .size:           4
        .value_kind:     by_value
      - .offset:         28
        .size:           4
        .value_kind:     by_value
      - .offset:         32
        .size:           8
        .value_kind:     by_value
      - .address_space:  global
        .offset:         40
        .size:           8
        .value_kind:     global_buffer
      - .offset:         48
        .size:           4
        .value_kind:     by_value
      - .offset:         52
        .size:           4
        .value_kind:     by_value
      - .offset:         56
        .size:           4
        .value_kind:     hidden_block_count_x
      - .offset:         60
        .size:           4
        .value_kind:     hidden_block_count_y
      - .offset:         64
        .size:           4
        .value_kind:     hidden_block_count_z
      - .offset:         68
        .size:           2
        .value_kind:     hidden_group_size_x
      - .offset:         70
        .size:           2
        .value_kind:     hidden_group_size_y
      - .offset:         72
        .size:           2
        .value_kind:     hidden_group_size_z
      - .offset:         74
        .size:           2
        .value_kind:     hidden_remainder_x
      - .offset:         76
        .size:           2
        .value_kind:     hidden_remainder_y
      - .offset:         78
        .size:           2
        .value_kind:     hidden_remainder_z
      - .offset:         96
        .size:           8
        .value_kind:     hidden_global_offset_x
      - .offset:         104
        .size:           8
        .value_kind:     hidden_global_offset_y
      - .offset:         112
        .size:           8
        .value_kind:     hidden_global_offset_z
      - .offset:         120
        .size:           2
        .value_kind:     hidden_grid_dims
    .group_segment_fixed_size: 0
    .kernarg_segment_align: 8
    .kernarg_segment_size: 312
    .language:       OpenCL C
    .language_version:
      - 2
      - 0
    .max_flat_workgroup_size: 1024
    .name:           _ZN9rocsolver6v33100L8copy_matI19rocblas_complex_numIdEdLb1EPS3_TnNSt9enable_ifIX18rocblas_is_complexIT_EEiE4typeELi0EEEvNS0_17copymat_directionEiiT2_iilPT0_13rocblas_fill_17rocblas_diagonal_
    .private_segment_fixed_size: 0
    .sgpr_count:     20
    .sgpr_spill_count: 0
    .symbol:         _ZN9rocsolver6v33100L8copy_matI19rocblas_complex_numIdEdLb1EPS3_TnNSt9enable_ifIX18rocblas_is_complexIT_EEiE4typeELi0EEEvNS0_17copymat_directionEiiT2_iilPT0_13rocblas_fill_17rocblas_diagonal_.kd
    .uniform_work_group_size: 1
    .uses_dynamic_stack: false
    .vgpr_count:     8
    .vgpr_spill_count: 0
    .wavefront_size: 32
    .workgroup_processor_mode: 1
  - .args:
      - .offset:         0
        .size:           4
        .value_kind:     by_value
      - .offset:         4
        .size:           4
        .value_kind:     by_value
      - .offset:         8
        .size:           4
        .value_kind:     by_value
      - .address_space:  global
        .offset:         16
        .size:           8
        .value_kind:     global_buffer
      - .offset:         24
        .size:           4
        .value_kind:     by_value
      - .offset:         28
        .size:           4
        .value_kind:     by_value
      - .offset:         32
        .size:           8
        .value_kind:     by_value
      - .address_space:  global
        .offset:         40
        .size:           8
        .value_kind:     global_buffer
      - .offset:         48
        .size:           4
        .value_kind:     by_value
      - .offset:         52
        .size:           4
        .value_kind:     by_value
      - .offset:         56
        .size:           4
        .value_kind:     hidden_block_count_x
      - .offset:         60
        .size:           4
        .value_kind:     hidden_block_count_y
      - .offset:         64
        .size:           4
        .value_kind:     hidden_block_count_z
      - .offset:         68
        .size:           2
        .value_kind:     hidden_group_size_x
      - .offset:         70
        .size:           2
        .value_kind:     hidden_group_size_y
      - .offset:         72
        .size:           2
        .value_kind:     hidden_group_size_z
      - .offset:         74
        .size:           2
        .value_kind:     hidden_remainder_x
      - .offset:         76
        .size:           2
        .value_kind:     hidden_remainder_y
      - .offset:         78
        .size:           2
        .value_kind:     hidden_remainder_z
      - .offset:         96
        .size:           8
        .value_kind:     hidden_global_offset_x
      - .offset:         104
        .size:           8
        .value_kind:     hidden_global_offset_y
      - .offset:         112
        .size:           8
        .value_kind:     hidden_global_offset_z
      - .offset:         120
        .size:           2
        .value_kind:     hidden_grid_dims
    .group_segment_fixed_size: 0
    .kernarg_segment_align: 8
    .kernarg_segment_size: 312
    .language:       OpenCL C
    .language_version:
      - 2
      - 0
    .max_flat_workgroup_size: 1024
    .name:           _ZN9rocsolver6v33100L8copy_matI19rocblas_complex_numIdEdLb0EPS3_TnNSt9enable_ifIX18rocblas_is_complexIT_EEiE4typeELi0EEEvNS0_17copymat_directionEiiT2_iilPT0_13rocblas_fill_17rocblas_diagonal_
    .private_segment_fixed_size: 0
    .sgpr_count:     21
    .sgpr_spill_count: 0
    .symbol:         _ZN9rocsolver6v33100L8copy_matI19rocblas_complex_numIdEdLb0EPS3_TnNSt9enable_ifIX18rocblas_is_complexIT_EEiE4typeELi0EEEvNS0_17copymat_directionEiiT2_iilPT0_13rocblas_fill_17rocblas_diagonal_.kd
    .uniform_work_group_size: 1
    .uses_dynamic_stack: false
    .vgpr_count:     8
    .vgpr_spill_count: 0
    .wavefront_size: 32
    .workgroup_processor_mode: 1
  - .args:
      - .offset:         0
        .size:           4
        .value_kind:     by_value
      - .address_space:  global
        .offset:         8
        .size:           8
        .value_kind:     global_buffer
      - .offset:         16
        .size:           8
        .value_kind:     by_value
      - .address_space:  global
        .offset:         24
        .size:           8
        .value_kind:     global_buffer
      - .offset:         32
        .size:           4
        .value_kind:     by_value
      - .offset:         36
        .size:           4
        .value_kind:     by_value
      - .offset:         40
        .size:           8
        .value_kind:     by_value
      - .offset:         48
        .size:           4
        .value_kind:     by_value
      - .address_space:  global
        .offset:         56
        .size:           8
        .value_kind:     global_buffer
      - .address_space:  global
        .offset:         64
        .size:           8
        .value_kind:     global_buffer
      - .offset:         72
        .size:           4
        .value_kind:     hidden_block_count_x
      - .offset:         76
        .size:           4
        .value_kind:     hidden_block_count_y
      - .offset:         80
        .size:           4
        .value_kind:     hidden_block_count_z
      - .offset:         84
        .size:           2
        .value_kind:     hidden_group_size_x
      - .offset:         86
        .size:           2
        .value_kind:     hidden_group_size_y
      - .offset:         88
        .size:           2
        .value_kind:     hidden_group_size_z
      - .offset:         90
        .size:           2
        .value_kind:     hidden_remainder_x
      - .offset:         92
        .size:           2
        .value_kind:     hidden_remainder_y
      - .offset:         94
        .size:           2
        .value_kind:     hidden_remainder_z
      - .offset:         112
        .size:           8
        .value_kind:     hidden_global_offset_x
      - .offset:         120
        .size:           8
        .value_kind:     hidden_global_offset_y
      - .offset:         128
        .size:           8
        .value_kind:     hidden_global_offset_z
      - .offset:         136
        .size:           2
        .value_kind:     hidden_grid_dims
      - .offset:         152
        .size:           8
        .value_kind:     hidden_hostcall_buffer
    .group_segment_fixed_size: 4096
    .kernarg_segment_align: 8
    .kernarg_segment_size: 328
    .language:       OpenCL C
    .language_version:
      - 2
      - 0
    .max_flat_workgroup_size: 256
    .name:           _ZN9rocsolver6v33100L11stedcx_sortI19rocblas_complex_numIdEdPS3_EEviPT0_lT1_iiliPiS8_
    .private_segment_fixed_size: 64
    .sgpr_count:     58
    .sgpr_spill_count: 0
    .symbol:         _ZN9rocsolver6v33100L11stedcx_sortI19rocblas_complex_numIdEdPS3_EEviPT0_lT1_iiliPiS8_.kd
    .uniform_work_group_size: 1
    .uses_dynamic_stack: false
    .vgpr_count:     51
    .vgpr_spill_count: 0
    .wavefront_size: 32
    .workgroup_processor_mode: 1
amdhsa.target:   amdgcn-amd-amdhsa--gfx1100
amdhsa.version:
  - 1
  - 2
...

	.end_amdgpu_metadata
